;; amdgpu-corpus repo=ROCm/rocFFT kind=compiled arch=gfx1100 opt=O3
	.text
	.amdgcn_target "amdgcn-amd-amdhsa--gfx1100"
	.amdhsa_code_object_version 6
	.protected	bluestein_single_fwd_len1782_dim1_dp_op_CI_CI ; -- Begin function bluestein_single_fwd_len1782_dim1_dp_op_CI_CI
	.globl	bluestein_single_fwd_len1782_dim1_dp_op_CI_CI
	.p2align	8
	.type	bluestein_single_fwd_len1782_dim1_dp_op_CI_CI,@function
bluestein_single_fwd_len1782_dim1_dp_op_CI_CI: ; @bluestein_single_fwd_len1782_dim1_dp_op_CI_CI
; %bb.0:
	s_load_b128 s[16:19], s[0:1], 0x28
	v_mul_u32_u24_e32 v1, 0x296, v0
	s_mov_b32 s2, exec_lo
	v_mov_b32_e32 v7, 0
	s_delay_alu instid0(VALU_DEP_2) | instskip(NEXT) | instid1(VALU_DEP_1)
	v_lshrrev_b32_e32 v1, 16, v1
	v_add_nc_u32_e32 v6, s15, v1
	s_waitcnt lgkmcnt(0)
	s_delay_alu instid0(VALU_DEP_1)
	v_cmpx_gt_u64_e64 s[16:17], v[6:7]
	s_cbranch_execz .LBB0_15
; %bb.1:
	s_clause 0x1
	s_load_b128 s[4:7], s[0:1], 0x18
	s_load_b64 s[2:3], s[0:1], 0x0
	v_mul_lo_u16 v1, 0x63, v1
	v_mov_b32_e32 v4, v6
	s_delay_alu instid0(VALU_DEP_2) | instskip(NEXT) | instid1(VALU_DEP_1)
	v_sub_nc_u16 v92, v0, v1
	v_and_b32_e32 v216, 0xffff, v92
	s_delay_alu instid0(VALU_DEP_1)
	v_lshlrev_b32_e32 v170, 4, v216
	s_waitcnt lgkmcnt(0)
	s_load_b128 s[8:11], s[4:5], 0x0
	s_clause 0x1
	global_load_b128 v[93:96], v170, s[2:3]
	global_load_b128 v[97:100], v170, s[2:3] offset:2592
	v_add_co_u32 v88, s4, s2, v170
	s_delay_alu instid0(VALU_DEP_1) | instskip(NEXT) | instid1(VALU_DEP_2)
	v_add_co_ci_u32_e64 v89, null, s3, 0, s4
	v_add_co_u32 v14, vcc_lo, 0x1000, v88
	s_delay_alu instid0(VALU_DEP_2)
	v_add_co_ci_u32_e32 v15, vcc_lo, 0, v89, vcc_lo
	v_add_co_u32 v10, vcc_lo, 0x2000, v88
	v_add_co_ci_u32_e32 v11, vcc_lo, 0, v89, vcc_lo
	s_clause 0x1
	scratch_store_b64 off, v[4:5], off offset:112
	scratch_store_b64 off, v[14:15], off offset:104
	v_add_co_u32 v12, vcc_lo, 0x3000, v88
	scratch_store_b64 off, v[10:11], off offset:96 ; 8-byte Folded Spill
	s_waitcnt lgkmcnt(0)
	v_mad_u64_u32 v[0:1], null, s10, v6, 0
	v_mad_u64_u32 v[2:3], null, s8, v216, 0
	v_add_co_ci_u32_e32 v13, vcc_lo, 0, v89, vcc_lo
	v_add_co_u32 v8, vcc_lo, 0x4000, v88
	v_add_co_ci_u32_e32 v9, vcc_lo, 0, v89, vcc_lo
	s_delay_alu instid0(VALU_DEP_4) | instskip(SKIP_3) | instid1(VALU_DEP_3)
	v_mad_u64_u32 v[4:5], null, s11, v6, v[1:2]
	v_mov_b32_e32 v1, v3
	v_add_co_u32 v40, vcc_lo, 0x5000, v88
	v_add_co_ci_u32_e32 v41, vcc_lo, 0, v89, vcc_lo
	v_mad_u64_u32 v[5:6], null, s9, v216, v[1:2]
	v_mov_b32_e32 v1, v4
	v_add_co_u32 v42, vcc_lo, 0x6000, v88
	v_add_co_ci_u32_e32 v43, vcc_lo, 0, v89, vcc_lo
	s_delay_alu instid0(VALU_DEP_3)
	v_lshlrev_b64 v[0:1], 4, v[0:1]
	v_mov_b32_e32 v3, v5
	s_mul_i32 s3, s9, 0xa2
	s_mul_hi_u32 s4, s8, 0xa2
	s_mul_i32 s2, s8, 0xa2
	s_add_i32 s3, s4, s3
	v_lshlrev_b64 v[2:3], 4, v[2:3]
	v_add_co_u32 v0, vcc_lo, s18, v0
	v_add_co_ci_u32_e32 v1, vcc_lo, s19, v1, vcc_lo
	s_lshl_b64 s[12:13], s[2:3], 4
	s_delay_alu instid0(VALU_DEP_2) | instskip(NEXT) | instid1(VALU_DEP_2)
	v_add_co_u32 v0, vcc_lo, v0, v2
	v_add_co_ci_u32_e32 v1, vcc_lo, v1, v3, vcc_lo
	s_clause 0x1
	global_load_b128 v[133:136], v[14:15], off offset:1088
	global_load_b128 v[125:128], v[14:15], off offset:3680
	v_add_co_u32 v6, vcc_lo, v0, s12
	v_add_co_ci_u32_e32 v7, vcc_lo, s13, v1, vcc_lo
	s_clause 0x1
	global_load_b128 v[129:132], v[10:11], off offset:2176
	global_load_b128 v[121:124], v[12:13], off offset:672
	v_add_co_u32 v10, vcc_lo, v6, s12
	v_add_co_ci_u32_e32 v11, vcc_lo, s13, v7, vcc_lo
	s_clause 0x1
	scratch_store_b64 off, v[12:13], off offset:88
	scratch_store_b64 off, v[8:9], off offset:80
	v_add_co_u32 v14, vcc_lo, v10, s12
	v_add_co_ci_u32_e32 v15, vcc_lo, s13, v11, vcc_lo
	s_clause 0x1
	global_load_b128 v[113:116], v[12:13], off offset:3264
	global_load_b128 v[109:112], v[8:9], off offset:1760
	s_clause 0x1
	global_load_b128 v[2:5], v[0:1], off
	global_load_b128 v[6:9], v[6:7], off
	v_add_co_u32 v0, vcc_lo, v14, s12
	v_add_co_ci_u32_e32 v1, vcc_lo, s13, v15, vcc_lo
	s_clause 0x1
	global_load_b128 v[10:13], v[10:11], off
	global_load_b128 v[14:17], v[14:15], off
	v_add_co_u32 v22, vcc_lo, v0, s12
	v_add_co_ci_u32_e32 v23, vcc_lo, s13, v1, vcc_lo
	global_load_b128 v[18:21], v[0:1], off
	v_add_co_u32 v0, vcc_lo, v22, s12
	v_add_co_ci_u32_e32 v1, vcc_lo, s13, v23, vcc_lo
	global_load_b128 v[117:120], v[40:41], off offset:256
	v_add_co_u32 v30, vcc_lo, v0, s12
	v_add_co_ci_u32_e32 v31, vcc_lo, s13, v1, vcc_lo
	global_load_b128 v[26:29], v[0:1], off
	v_add_co_u32 v0, vcc_lo, v30, s12
	v_add_co_ci_u32_e32 v1, vcc_lo, s13, v31, vcc_lo
	global_load_b128 v[30:33], v[30:31], off
	;; [unrolled: 3-line block ×3, first 2 shown]
	v_add_co_u32 v0, vcc_lo, v38, s12
	v_add_co_ci_u32_e32 v1, vcc_lo, s13, v39, vcc_lo
	scratch_store_b64 off, v[40:41], off offset:72 ; 8-byte Folded Spill
	global_load_b128 v[22:25], v[22:23], off
	global_load_b128 v[101:104], v[40:41], off offset:2848
	global_load_b128 v[38:41], v[38:39], off
	scratch_store_b64 off, v[42:43], off    ; 8-byte Folded Spill
	global_load_b128 v[105:108], v[42:43], off offset:1344
	global_load_b128 v[42:45], v[0:1], off
	v_cmp_gt_u16_e32 vcc_lo, 63, v92
	s_waitcnt vmcnt(21)
	scratch_store_b128 off, v[93:96], off offset:124 ; 16-byte Folded Spill
	s_waitcnt vmcnt(20)
	scratch_store_b128 off, v[97:100], off offset:140 ; 16-byte Folded Spill
	;; [unrolled: 2-line block ×8, first 2 shown]
	s_waitcnt vmcnt(13)
	v_mul_f64 v[46:47], v[4:5], v[95:96]
	v_mul_f64 v[48:49], v[2:3], v[95:96]
	s_waitcnt vmcnt(12)
	v_mul_f64 v[50:51], v[8:9], v[99:100]
	v_mul_f64 v[52:53], v[6:7], v[99:100]
	;; [unrolled: 3-line block ×5, first 2 shown]
	s_waitcnt vmcnt(8)
	scratch_store_b128 off, v[117:120], off offset:220 ; 16-byte Folded Spill
	s_waitcnt vmcnt(7)
	v_mul_f64 v[70:71], v[28:29], v[115:116]
	v_mul_f64 v[72:73], v[26:27], v[115:116]
	s_waitcnt vmcnt(6)
	v_mul_f64 v[74:75], v[32:33], v[111:112]
	v_mul_f64 v[76:77], v[30:31], v[111:112]
	;; [unrolled: 3-line block ×3, first 2 shown]
	s_waitcnt vmcnt(4)
	v_mul_f64 v[66:67], v[24:25], v[123:124]
	s_waitcnt vmcnt(2)
	v_mul_f64 v[82:83], v[40:41], v[103:104]
	v_mul_f64 v[84:85], v[38:39], v[103:104]
	s_waitcnt vmcnt(0)
	v_mul_f64 v[86:87], v[44:45], v[107:108]
	v_mul_f64 v[90:91], v[42:43], v[107:108]
	;; [unrolled: 1-line block ×3, first 2 shown]
	v_fma_f64 v[2:3], v[2:3], v[93:94], v[46:47]
	v_fma_f64 v[4:5], v[4:5], v[93:94], -v[48:49]
	v_fma_f64 v[6:7], v[6:7], v[97:98], v[50:51]
	v_fma_f64 v[8:9], v[8:9], v[97:98], -v[52:53]
	v_fma_f64 v[10:11], v[10:11], v[133:134], v[54:55]
	v_fma_f64 v[12:13], v[12:13], v[133:134], -v[56:57]
	v_fma_f64 v[14:15], v[14:15], v[125:126], v[58:59]
	v_fma_f64 v[16:17], v[16:17], v[125:126], -v[60:61]
	v_fma_f64 v[18:19], v[18:19], v[129:130], v[62:63]
	v_fma_f64 v[20:21], v[20:21], v[129:130], -v[64:65]
	s_clause 0x1
	scratch_store_b128 off, v[101:104], off offset:156
	scratch_store_b128 off, v[105:108], off offset:172
	s_load_b64 s[10:11], s[0:1], 0x38
	s_load_b128 s[4:7], s[6:7], 0x0
	v_fma_f64 v[26:27], v[26:27], v[113:114], v[70:71]
	v_fma_f64 v[28:29], v[28:29], v[113:114], -v[72:73]
	v_fma_f64 v[30:31], v[30:31], v[109:110], v[74:75]
	v_fma_f64 v[32:33], v[32:33], v[109:110], -v[76:77]
	;; [unrolled: 2-line block ×3, first 2 shown]
	v_fma_f64 v[22:23], v[22:23], v[121:122], v[66:67]
	v_fma_f64 v[38:39], v[38:39], v[101:102], v[82:83]
	v_fma_f64 v[40:41], v[40:41], v[101:102], -v[84:85]
	v_fma_f64 v[42:43], v[42:43], v[105:106], v[86:87]
	v_fma_f64 v[44:45], v[44:45], v[105:106], -v[90:91]
	v_fma_f64 v[24:25], v[24:25], v[121:122], -v[68:69]
	ds_store_b128 v170, v[2:5]
	ds_store_b128 v170, v[6:9] offset:2592
	ds_store_b128 v170, v[10:13] offset:5184
	ds_store_b128 v170, v[14:17] offset:7776
	ds_store_b128 v170, v[18:21] offset:10368
	ds_store_b128 v170, v[22:25] offset:12960
	ds_store_b128 v170, v[26:29] offset:15552
	ds_store_b128 v170, v[30:33] offset:18144
	ds_store_b128 v170, v[34:37] offset:20736
	ds_store_b128 v170, v[38:41] offset:23328
	ds_store_b128 v170, v[42:45] offset:25920
	s_and_saveexec_b32 s3, vcc_lo
	s_cbranch_execz .LBB0_3
; %bb.2:
	scratch_load_b64 v[8:9], off, off offset:104 ; 8-byte Folded Reload
	v_mad_u64_u32 v[28:29], null, 0xffffa0f0, s8, v[0:1]
	global_load_b128 v[0:3], v[88:89], off offset:1584
	s_mul_i32 s2, s9, 0xffffa0f0
	s_waitcnt vmcnt(1)
	s_clause 0x1
	global_load_b128 v[4:7], v[8:9], off offset:80
	global_load_b128 v[8:11], v[8:9], off offset:2672
	scratch_load_b64 v[16:17], off, off offset:96 ; 8-byte Folded Reload
	s_sub_i32 s2, s2, s8
	s_waitcnt vmcnt(0)
	s_clause 0x1
	global_load_b128 v[12:15], v[16:17], off offset:1168
	global_load_b128 v[16:19], v[16:17], off offset:3760
	scratch_load_b64 v[20:21], off, off offset:88 ; 8-byte Folded Reload
	v_add_nc_u32_e32 v29, s2, v29
	v_add_co_u32 v32, s2, v28, s12
	s_waitcnt vmcnt(0)
	global_load_b128 v[20:23], v[20:21], off offset:2256
	scratch_load_b64 v[62:63], off, off offset:80 ; 8-byte Folded Reload
	v_add_co_ci_u32_e64 v33, s2, s13, v29, s2
	v_add_co_u32 v36, s2, v32, s12
	global_load_b128 v[28:31], v[28:29], off
	v_add_co_ci_u32_e64 v37, s2, s13, v33, s2
	v_add_co_u32 v40, s2, v36, s12
	global_load_b128 v[32:35], v[32:33], off
	;; [unrolled: 3-line block ×3, first 2 shown]
	v_add_co_ci_u32_e64 v45, s2, s13, v41, s2
	v_add_co_u32 v48, s2, v44, s12
	s_delay_alu instid0(VALU_DEP_1) | instskip(NEXT) | instid1(VALU_DEP_2)
	v_add_co_ci_u32_e64 v49, s2, s13, v45, s2
	v_add_co_u32 v52, s2, v48, s12
	s_delay_alu instid0(VALU_DEP_1) | instskip(NEXT) | instid1(VALU_DEP_2)
	;; [unrolled: 3-line block ×5, first 2 shown]
	v_add_co_ci_u32_e64 v73, s2, s13, v65, s2
	v_add_co_u32 v84, s2, v72, s12
	s_delay_alu instid0(VALU_DEP_1)
	v_add_co_ci_u32_e64 v85, s2, s13, v73, s2
	s_waitcnt vmcnt(3)
	global_load_b128 v[24:27], v[62:63], off offset:752
	global_load_b128 v[40:43], v[40:41], off
	global_load_b128 v[44:47], v[44:45], off
	;; [unrolled: 1-line block ×5, first 2 shown]
	scratch_load_b64 v[68:69], off, off offset:72 ; 8-byte Folded Reload
	global_load_b128 v[60:63], v[62:63], off offset:3344
	global_load_b128 v[64:67], v[64:65], off
	s_waitcnt vmcnt(11)
	v_mul_f64 v[90:91], v[30:31], v[2:3]
	v_mul_f64 v[2:3], v[28:29], v[2:3]
	s_waitcnt vmcnt(2)
	global_load_b128 v[68:71], v[68:69], off offset:1840
	global_load_b128 v[72:75], v[72:73], off
	scratch_load_b64 v[80:81], off, off     ; 8-byte Folded Reload
	v_mul_f64 v[92:93], v[34:35], v[6:7]
	v_mul_f64 v[6:7], v[32:33], v[6:7]
	;; [unrolled: 1-line block ×12, first 2 shown]
	s_waitcnt vmcnt(4)
	v_mul_f64 v[106:107], v[58:59], v[62:63]
	v_mul_f64 v[62:63], v[56:57], v[62:63]
	v_fma_f64 v[26:27], v[28:29], v[0:1], v[90:91]
	v_fma_f64 v[28:29], v[30:31], v[0:1], -v[2:3]
	s_waitcnt vmcnt(0)
	s_clause 0x1
	global_load_b128 v[76:79], v[80:81], off offset:336
	global_load_b128 v[80:83], v[80:81], off offset:2928
	global_load_b128 v[84:87], v[84:85], off
	v_mul_f64 v[108:109], v[66:67], v[70:71]
	v_mul_f64 v[70:71], v[64:65], v[70:71]
	v_fma_f64 v[0:1], v[32:33], v[4:5], v[92:93]
	v_fma_f64 v[2:3], v[34:35], v[4:5], -v[6:7]
	v_fma_f64 v[4:5], v[36:37], v[8:9], v[94:95]
	v_fma_f64 v[6:7], v[38:39], v[8:9], -v[10:11]
	;; [unrolled: 2-line block ×8, first 2 shown]
	s_waitcnt vmcnt(2)
	v_mul_f64 v[110:111], v[74:75], v[78:79]
	v_mul_f64 v[78:79], v[72:73], v[78:79]
	s_waitcnt vmcnt(0)
	v_mul_f64 v[112:113], v[86:87], v[82:83]
	v_mul_f64 v[82:83], v[84:85], v[82:83]
	s_delay_alu instid0(VALU_DEP_4) | instskip(NEXT) | instid1(VALU_DEP_4)
	v_fma_f64 v[38:39], v[72:73], v[76:77], v[110:111]
	v_fma_f64 v[40:41], v[74:75], v[76:77], -v[78:79]
	s_delay_alu instid0(VALU_DEP_4) | instskip(NEXT) | instid1(VALU_DEP_4)
	v_fma_f64 v[42:43], v[84:85], v[80:81], v[112:113]
	v_fma_f64 v[44:45], v[86:87], v[80:81], -v[82:83]
	ds_store_b128 v170, v[26:29] offset:1584
	ds_store_b128 v170, v[0:3] offset:4176
	;; [unrolled: 1-line block ×11, first 2 shown]
.LBB0_3:
	s_or_b32 exec_lo, exec_lo, s3
	s_waitcnt lgkmcnt(0)
	s_waitcnt_vscnt null, 0x0
	s_barrier
	buffer_gl0_inv
	ds_load_b128 v[28:31], v170
	ds_load_b128 v[36:39], v170 offset:2592
	ds_load_b128 v[44:47], v170 offset:5184
	;; [unrolled: 1-line block ×10, first 2 shown]
	s_load_b64 s[2:3], s[0:1], 0x8
                                        ; implicit-def: $vgpr4_vgpr5
                                        ; implicit-def: $vgpr24_vgpr25
                                        ; implicit-def: $vgpr60_vgpr61
                                        ; implicit-def: $vgpr68_vgpr69
                                        ; implicit-def: $vgpr72_vgpr73
                                        ; implicit-def: $vgpr64_vgpr65
                                        ; implicit-def: $vgpr20_vgpr21
                                        ; implicit-def: $vgpr16_vgpr17
                                        ; implicit-def: $vgpr12_vgpr13
                                        ; implicit-def: $vgpr8_vgpr9
                                        ; implicit-def: $vgpr0_vgpr1
	s_and_saveexec_b32 s0, vcc_lo
	s_cbranch_execz .LBB0_5
; %bb.4:
	ds_load_b128 v[4:7], v170 offset:1584
	ds_load_b128 v[24:27], v170 offset:4176
	;; [unrolled: 1-line block ×11, first 2 shown]
.LBB0_5:
	s_or_b32 exec_lo, exec_lo, s0
	s_waitcnt lgkmcnt(0)
	v_add_f64 v[90:91], v[28:29], v[36:37]
	v_add_f64 v[92:93], v[30:31], v[38:39]
	;; [unrolled: 1-line block ×3, first 2 shown]
	s_mov_b32 s24, 0xf8bb580b
	s_mov_b32 s22, 0x8eee2c13
	;; [unrolled: 1-line block ×28, first 2 shown]
	v_add_f64 v[152:153], v[24:25], -v[0:1]
	v_mul_lo_u16 v171, v216, 11
	s_delay_alu instid0(VALU_DEP_1) | instskip(SKIP_2) | instid1(VALU_DEP_3)
	v_and_b32_e32 v171, 0xffff, v171
	v_add_f64 v[90:91], v[90:91], v[44:45]
	v_add_f64 v[92:93], v[92:93], v[46:47]
	v_lshlrev_b32_e32 v171, 4, v171
	v_mul_f64 v[160:161], v[152:153], s[22:23]
	v_mul_f64 v[164:165], v[152:153], s[18:19]
	;; [unrolled: 1-line block ×3, first 2 shown]
	v_add_f64 v[90:91], v[90:91], v[52:53]
	v_add_f64 v[92:93], v[92:93], v[54:55]
	s_delay_alu instid0(VALU_DEP_2) | instskip(NEXT) | instid1(VALU_DEP_2)
	v_add_f64 v[90:91], v[90:91], v[76:77]
	v_add_f64 v[92:93], v[92:93], v[78:79]
	s_delay_alu instid0(VALU_DEP_2) | instskip(NEXT) | instid1(VALU_DEP_2)
	v_add_f64 v[90:91], v[90:91], v[84:85]
	v_add_f64 v[96:97], v[92:93], v[86:87]
	v_add_f64 v[92:93], v[84:85], v[80:81]
	v_add_f64 v[84:85], v[84:85], -v[80:81]
	v_add_f64 v[86:87], v[86:87], -v[82:83]
	v_add_f64 v[90:91], v[90:91], v[80:81]
	v_add_f64 v[96:97], v[96:97], v[82:83]
	v_add_f64 v[80:81], v[76:77], v[56:57]
	v_add_f64 v[82:83], v[78:79], v[58:59]
	v_add_f64 v[76:77], v[76:77], -v[56:57]
	v_add_f64 v[78:79], v[78:79], -v[58:59]
	v_add_f64 v[90:91], v[90:91], v[56:57]
	;; [unrolled: 6-line block ×4, first 2 shown]
	v_add_f64 v[42:43], v[96:97], v[42:43]
	v_add_f64 v[90:91], v[38:39], -v[34:35]
	v_add_f64 v[96:97], v[36:37], v[32:33]
	v_add_f64 v[38:39], v[38:39], v[34:35]
	v_add_f64 v[36:37], v[36:37], -v[32:33]
	v_add_f64 v[32:33], v[40:41], v[32:33]
	v_add_f64 v[34:35], v[42:43], v[34:35]
	v_mul_f64 v[40:41], v[90:91], s[24:25]
	v_mul_f64 v[42:43], v[90:91], s[22:23]
	;; [unrolled: 1-line block ×8, first 2 shown]
	v_fma_f64 v[102:103], v[96:97], s[16:17], -v[40:41]
	v_fma_f64 v[40:41], v[96:97], s[16:17], v[40:41]
	v_fma_f64 v[104:105], v[96:97], s[12:13], -v[42:43]
	v_fma_f64 v[42:43], v[96:97], s[12:13], v[42:43]
	;; [unrolled: 2-line block ×5, first 2 shown]
	v_mul_f64 v[96:97], v[36:37], s[24:25]
	v_mul_f64 v[36:37], v[36:37], s[28:29]
	v_fma_f64 v[120:121], v[38:39], s[12:13], v[112:113]
	v_fma_f64 v[112:113], v[38:39], s[12:13], -v[112:113]
	v_fma_f64 v[122:123], v[38:39], s[0:1], v[114:115]
	v_fma_f64 v[114:115], v[38:39], s[0:1], -v[114:115]
	;; [unrolled: 2-line block ×3, first 2 shown]
	v_add_f64 v[40:41], v[28:29], v[40:41]
	v_add_f64 v[104:105], v[28:29], v[104:105]
	;; [unrolled: 1-line block ×8, first 2 shown]
	v_fma_f64 v[118:119], v[38:39], s[16:17], v[96:97]
	v_fma_f64 v[96:97], v[38:39], s[16:17], -v[96:97]
	v_fma_f64 v[126:127], v[38:39], s[8:9], v[36:37]
	v_fma_f64 v[36:37], v[38:39], s[8:9], -v[36:37]
	v_add_f64 v[38:39], v[28:29], v[102:103]
	v_add_f64 v[112:113], v[30:31], v[112:113]
	;; [unrolled: 1-line block ×12, first 2 shown]
	v_mul_f64 v[36:37], v[46:47], s[22:23]
	s_delay_alu instid0(VALU_DEP_1) | instskip(SKIP_1) | instid1(VALU_DEP_2)
	v_fma_f64 v[90:91], v[48:49], s[12:13], -v[36:37]
	v_fma_f64 v[36:37], v[48:49], s[12:13], v[36:37]
	v_add_f64 v[38:39], v[90:91], v[38:39]
	v_mul_f64 v[90:91], v[44:45], s[22:23]
	s_delay_alu instid0(VALU_DEP_3) | instskip(NEXT) | instid1(VALU_DEP_2)
	v_add_f64 v[36:37], v[36:37], v[40:41]
	v_fma_f64 v[126:127], v[50:51], s[12:13], v[90:91]
	v_fma_f64 v[40:41], v[50:51], s[12:13], -v[90:91]
	s_delay_alu instid0(VALU_DEP_2) | instskip(SKIP_1) | instid1(VALU_DEP_3)
	v_add_f64 v[102:103], v[126:127], v[102:103]
	v_mul_f64 v[126:127], v[54:55], s[18:19]
	v_add_f64 v[40:41], v[40:41], v[96:97]
	v_mul_f64 v[96:97], v[54:55], s[36:37]
	s_delay_alu instid0(VALU_DEP_3) | instskip(SKIP_1) | instid1(VALU_DEP_2)
	v_fma_f64 v[128:129], v[56:57], s[0:1], -v[126:127]
	v_fma_f64 v[90:91], v[56:57], s[0:1], v[126:127]
	v_add_f64 v[38:39], v[128:129], v[38:39]
	v_mul_f64 v[128:129], v[52:53], s[18:19]
	s_delay_alu instid0(VALU_DEP_3) | instskip(NEXT) | instid1(VALU_DEP_2)
	v_add_f64 v[36:37], v[90:91], v[36:37]
	v_fma_f64 v[130:131], v[58:59], s[0:1], v[128:129]
	v_fma_f64 v[90:91], v[58:59], s[0:1], -v[128:129]
	s_delay_alu instid0(VALU_DEP_2) | instskip(SKIP_1) | instid1(VALU_DEP_3)
	v_add_f64 v[102:103], v[130:131], v[102:103]
	v_mul_f64 v[130:131], v[78:79], s[20:21]
	v_add_f64 v[40:41], v[90:91], v[40:41]
	s_delay_alu instid0(VALU_DEP_2) | instskip(SKIP_1) | instid1(VALU_DEP_2)
	v_fma_f64 v[132:133], v[80:81], s[14:15], -v[130:131]
	v_fma_f64 v[90:91], v[80:81], s[14:15], v[130:131]
	v_add_f64 v[38:39], v[132:133], v[38:39]
	v_mul_f64 v[132:133], v[76:77], s[20:21]
	s_delay_alu instid0(VALU_DEP_3) | instskip(NEXT) | instid1(VALU_DEP_2)
	v_add_f64 v[36:37], v[90:91], v[36:37]
	v_fma_f64 v[134:135], v[82:83], s[14:15], v[132:133]
	v_fma_f64 v[90:91], v[82:83], s[14:15], -v[132:133]
	s_delay_alu instid0(VALU_DEP_2) | instskip(SKIP_1) | instid1(VALU_DEP_3)
	v_add_f64 v[102:103], v[134:135], v[102:103]
	v_mul_f64 v[134:135], v[86:87], s[28:29]
	v_add_f64 v[40:41], v[90:91], v[40:41]
	s_delay_alu instid0(VALU_DEP_2) | instskip(SKIP_1) | instid1(VALU_DEP_2)
	v_fma_f64 v[136:137], v[92:93], s[8:9], -v[134:135]
	v_fma_f64 v[90:91], v[92:93], s[8:9], v[134:135]
	v_add_f64 v[172:173], v[136:137], v[38:39]
	v_mul_f64 v[38:39], v[84:85], s[28:29]
	s_delay_alu instid0(VALU_DEP_3) | instskip(SKIP_1) | instid1(VALU_DEP_3)
	v_add_f64 v[176:177], v[90:91], v[36:37]
	v_mul_f64 v[36:37], v[46:47], s[20:21]
	v_fma_f64 v[136:137], v[94:95], s[8:9], v[38:39]
	v_fma_f64 v[38:39], v[94:95], s[8:9], -v[38:39]
	s_delay_alu instid0(VALU_DEP_2) | instskip(NEXT) | instid1(VALU_DEP_2)
	v_add_f64 v[174:175], v[136:137], v[102:103]
	v_add_f64 v[178:179], v[38:39], v[40:41]
	v_fma_f64 v[38:39], v[48:49], s[14:15], -v[36:37]
	v_mul_f64 v[40:41], v[44:45], s[20:21]
	v_fma_f64 v[102:103], v[56:57], s[8:9], -v[96:97]
	v_fma_f64 v[36:37], v[48:49], s[14:15], v[36:37]
	s_delay_alu instid0(VALU_DEP_4) | instskip(NEXT) | instid1(VALU_DEP_4)
	v_add_f64 v[38:39], v[38:39], v[104:105]
	v_fma_f64 v[90:91], v[50:51], s[14:15], v[40:41]
	v_fma_f64 v[40:41], v[50:51], s[14:15], -v[40:41]
	s_delay_alu instid0(VALU_DEP_4)
	v_add_f64 v[36:37], v[36:37], v[42:43]
	v_fma_f64 v[42:43], v[56:57], s[8:9], v[96:97]
	v_add_f64 v[38:39], v[102:103], v[38:39]
	v_mul_f64 v[102:103], v[52:53], s[36:37]
	v_add_f64 v[90:91], v[90:91], v[118:119]
	v_add_f64 v[40:41], v[40:41], v[112:113]
	;; [unrolled: 1-line block ×3, first 2 shown]
	s_delay_alu instid0(VALU_DEP_4) | instskip(SKIP_1) | instid1(VALU_DEP_2)
	v_fma_f64 v[104:105], v[58:59], s[8:9], v[102:103]
	v_fma_f64 v[42:43], v[58:59], s[8:9], -v[102:103]
	v_add_f64 v[90:91], v[104:105], v[90:91]
	v_mul_f64 v[104:105], v[78:79], s[30:31]
	s_delay_alu instid0(VALU_DEP_3) | instskip(NEXT) | instid1(VALU_DEP_2)
	v_add_f64 v[40:41], v[42:43], v[40:41]
	v_fma_f64 v[118:119], v[80:81], s[0:1], -v[104:105]
	v_fma_f64 v[42:43], v[80:81], s[0:1], v[104:105]
	s_delay_alu instid0(VALU_DEP_2) | instskip(SKIP_1) | instid1(VALU_DEP_3)
	v_add_f64 v[38:39], v[118:119], v[38:39]
	v_mul_f64 v[118:119], v[76:77], s[30:31]
	v_add_f64 v[36:37], v[42:43], v[36:37]
	s_delay_alu instid0(VALU_DEP_2) | instskip(SKIP_1) | instid1(VALU_DEP_2)
	v_fma_f64 v[126:127], v[82:83], s[0:1], v[118:119]
	v_fma_f64 v[42:43], v[82:83], s[0:1], -v[118:119]
	v_add_f64 v[90:91], v[126:127], v[90:91]
	v_mul_f64 v[126:127], v[86:87], s[26:27]
	s_delay_alu instid0(VALU_DEP_3) | instskip(NEXT) | instid1(VALU_DEP_2)
	v_add_f64 v[40:41], v[42:43], v[40:41]
	v_fma_f64 v[128:129], v[92:93], s[16:17], -v[126:127]
	v_fma_f64 v[42:43], v[92:93], s[16:17], v[126:127]
	s_delay_alu instid0(VALU_DEP_2) | instskip(SKIP_1) | instid1(VALU_DEP_3)
	v_add_f64 v[180:181], v[128:129], v[38:39]
	v_mul_f64 v[38:39], v[84:85], s[26:27]
	v_add_f64 v[184:185], v[42:43], v[36:37]
	v_mul_f64 v[36:37], v[46:47], s[36:37]
	s_delay_alu instid0(VALU_DEP_3) | instskip(SKIP_1) | instid1(VALU_DEP_2)
	v_fma_f64 v[128:129], v[94:95], s[16:17], v[38:39]
	v_fma_f64 v[38:39], v[94:95], s[16:17], -v[38:39]
	v_add_f64 v[182:183], v[128:129], v[90:91]
	s_delay_alu instid0(VALU_DEP_2) | instskip(SKIP_4) | instid1(VALU_DEP_4)
	v_add_f64 v[186:187], v[38:39], v[40:41]
	v_fma_f64 v[38:39], v[48:49], s[8:9], -v[36:37]
	v_mul_f64 v[90:91], v[54:55], s[34:35]
	v_mul_f64 v[40:41], v[44:45], s[36:37]
	v_fma_f64 v[36:37], v[48:49], s[8:9], v[36:37]
	v_add_f64 v[38:39], v[38:39], v[106:107]
	s_delay_alu instid0(VALU_DEP_4) | instskip(NEXT) | instid1(VALU_DEP_4)
	v_fma_f64 v[96:97], v[56:57], s[12:13], -v[90:91]
	v_fma_f64 v[42:43], v[50:51], s[8:9], v[40:41]
	s_delay_alu instid0(VALU_DEP_4) | instskip(SKIP_1) | instid1(VALU_DEP_4)
	v_add_f64 v[36:37], v[36:37], v[98:99]
	v_fma_f64 v[40:41], v[50:51], s[8:9], -v[40:41]
	v_add_f64 v[38:39], v[96:97], v[38:39]
	v_mul_f64 v[96:97], v[52:53], s[34:35]
	v_add_f64 v[42:43], v[42:43], v[120:121]
	s_delay_alu instid0(VALU_DEP_4) | instskip(SKIP_1) | instid1(VALU_DEP_4)
	v_add_f64 v[40:41], v[40:41], v[114:115]
	v_add_f64 v[120:121], v[26:27], v[2:3]
	v_fma_f64 v[102:103], v[58:59], s[12:13], v[96:97]
	s_delay_alu instid0(VALU_DEP_1) | instskip(SKIP_1) | instid1(VALU_DEP_1)
	v_add_f64 v[42:43], v[102:103], v[42:43]
	v_mul_f64 v[102:103], v[78:79], s[24:25]
	v_fma_f64 v[104:105], v[80:81], s[16:17], -v[102:103]
	s_delay_alu instid0(VALU_DEP_1) | instskip(SKIP_1) | instid1(VALU_DEP_1)
	v_add_f64 v[38:39], v[104:105], v[38:39]
	v_mul_f64 v[104:105], v[76:77], s[24:25]
	v_fma_f64 v[106:107], v[82:83], s[16:17], v[104:105]
	s_delay_alu instid0(VALU_DEP_1) | instskip(SKIP_1) | instid1(VALU_DEP_1)
	v_add_f64 v[42:43], v[106:107], v[42:43]
	v_mul_f64 v[106:107], v[86:87], s[20:21]
	v_fma_f64 v[112:113], v[92:93], s[14:15], -v[106:107]
	s_delay_alu instid0(VALU_DEP_1) | instskip(SKIP_1) | instid1(VALU_DEP_1)
	v_add_f64 v[188:189], v[112:113], v[38:39]
	v_mul_f64 v[38:39], v[84:85], s[20:21]
	v_fma_f64 v[112:113], v[94:95], s[14:15], v[38:39]
	v_fma_f64 v[38:39], v[94:95], s[14:15], -v[38:39]
	s_delay_alu instid0(VALU_DEP_2) | instskip(SKIP_2) | instid1(VALU_DEP_2)
	v_add_f64 v[190:191], v[112:113], v[42:43]
	v_fma_f64 v[42:43], v[56:57], s[12:13], v[90:91]
	v_mul_f64 v[90:91], v[54:55], s[24:25]
	v_add_f64 v[36:37], v[42:43], v[36:37]
	v_fma_f64 v[42:43], v[58:59], s[12:13], -v[96:97]
	s_delay_alu instid0(VALU_DEP_3) | instskip(NEXT) | instid1(VALU_DEP_2)
	v_fma_f64 v[96:97], v[56:57], s[16:17], -v[90:91]
	v_add_f64 v[40:41], v[42:43], v[40:41]
	v_fma_f64 v[42:43], v[80:81], s[16:17], v[102:103]
	s_delay_alu instid0(VALU_DEP_1) | instskip(SKIP_1) | instid1(VALU_DEP_1)
	v_add_f64 v[36:37], v[42:43], v[36:37]
	v_fma_f64 v[42:43], v[82:83], s[16:17], -v[104:105]
	v_add_f64 v[40:41], v[42:43], v[40:41]
	v_fma_f64 v[42:43], v[92:93], s[14:15], v[106:107]
	s_delay_alu instid0(VALU_DEP_2) | instskip(NEXT) | instid1(VALU_DEP_2)
	v_add_f64 v[194:195], v[38:39], v[40:41]
	v_add_f64 v[192:193], v[42:43], v[36:37]
	v_mul_f64 v[36:37], v[46:47], s[30:31]
	v_mul_f64 v[40:41], v[44:45], s[30:31]
	s_delay_alu instid0(VALU_DEP_2) | instskip(NEXT) | instid1(VALU_DEP_2)
	v_fma_f64 v[38:39], v[48:49], s[0:1], -v[36:37]
	v_fma_f64 v[42:43], v[50:51], s[0:1], v[40:41]
	v_fma_f64 v[36:37], v[48:49], s[0:1], v[36:37]
	v_fma_f64 v[40:41], v[50:51], s[0:1], -v[40:41]
	s_delay_alu instid0(VALU_DEP_4) | instskip(NEXT) | instid1(VALU_DEP_4)
	v_add_f64 v[38:39], v[38:39], v[108:109]
	v_add_f64 v[42:43], v[42:43], v[122:123]
	s_delay_alu instid0(VALU_DEP_4) | instskip(NEXT) | instid1(VALU_DEP_4)
	v_add_f64 v[36:37], v[36:37], v[100:101]
	v_add_f64 v[40:41], v[40:41], v[116:117]
	v_add_f64 v[100:101], v[26:27], -v[2:3]
	v_mul_f64 v[122:123], v[152:153], s[24:25]
	v_add_f64 v[38:39], v[96:97], v[38:39]
	v_mul_f64 v[96:97], v[52:53], s[24:25]
	s_delay_alu instid0(VALU_DEP_4) | instskip(SKIP_2) | instid1(VALU_DEP_4)
	v_mul_f64 v[158:159], v[100:101], s[22:23]
	v_mul_f64 v[162:163], v[100:101], s[18:19]
	;; [unrolled: 1-line block ×3, first 2 shown]
	v_fma_f64 v[98:99], v[58:59], s[16:17], v[96:97]
	s_delay_alu instid0(VALU_DEP_1) | instskip(SKIP_1) | instid1(VALU_DEP_1)
	v_add_f64 v[42:43], v[98:99], v[42:43]
	v_mul_f64 v[98:99], v[78:79], s[28:29]
	v_fma_f64 v[102:103], v[80:81], s[8:9], -v[98:99]
	s_delay_alu instid0(VALU_DEP_1) | instskip(SKIP_1) | instid1(VALU_DEP_1)
	v_add_f64 v[38:39], v[102:103], v[38:39]
	v_mul_f64 v[102:103], v[76:77], s[28:29]
	v_fma_f64 v[104:105], v[82:83], s[8:9], v[102:103]
	s_delay_alu instid0(VALU_DEP_1) | instskip(SKIP_1) | instid1(VALU_DEP_1)
	v_add_f64 v[42:43], v[104:105], v[42:43]
	v_mul_f64 v[104:105], v[86:87], s[34:35]
	v_fma_f64 v[106:107], v[92:93], s[12:13], -v[104:105]
	s_delay_alu instid0(VALU_DEP_1) | instskip(SKIP_1) | instid1(VALU_DEP_1)
	v_add_f64 v[196:197], v[106:107], v[38:39]
	v_mul_f64 v[38:39], v[84:85], s[34:35]
	v_fma_f64 v[106:107], v[94:95], s[12:13], v[38:39]
	v_fma_f64 v[38:39], v[94:95], s[12:13], -v[38:39]
	s_delay_alu instid0(VALU_DEP_2) | instskip(SKIP_2) | instid1(VALU_DEP_2)
	v_add_f64 v[198:199], v[106:107], v[42:43]
	v_fma_f64 v[42:43], v[56:57], s[16:17], v[90:91]
	v_add_f64 v[90:91], v[62:63], -v[10:11]
	v_add_f64 v[36:37], v[42:43], v[36:37]
	v_fma_f64 v[42:43], v[58:59], s[16:17], -v[96:97]
	v_add_f64 v[96:97], v[24:25], v[0:1]
	s_delay_alu instid0(VALU_DEP_2) | instskip(SKIP_2) | instid1(VALU_DEP_2)
	v_add_f64 v[40:41], v[42:43], v[40:41]
	v_fma_f64 v[42:43], v[80:81], s[8:9], v[98:99]
	v_mul_f64 v[98:99], v[100:101], s[24:25]
	v_add_f64 v[36:37], v[42:43], v[36:37]
	v_fma_f64 v[42:43], v[82:83], s[8:9], -v[102:103]
	v_add_f64 v[102:103], v[66:67], -v[22:23]
	s_delay_alu instid0(VALU_DEP_2) | instskip(SKIP_1) | instid1(VALU_DEP_2)
	v_add_f64 v[40:41], v[42:43], v[40:41]
	v_fma_f64 v[42:43], v[92:93], s[12:13], v[104:105]
	v_add_f64 v[202:203], v[38:39], v[40:41]
	s_delay_alu instid0(VALU_DEP_2) | instskip(SKIP_3) | instid1(VALU_DEP_3)
	v_add_f64 v[200:201], v[42:43], v[36:37]
	v_mul_f64 v[36:37], v[46:47], s[26:27]
	v_mul_f64 v[40:41], v[44:45], s[26:27]
	;; [unrolled: 1-line block ×3, first 2 shown]
	v_fma_f64 v[38:39], v[48:49], s[16:17], -v[36:37]
	s_delay_alu instid0(VALU_DEP_3) | instskip(NEXT) | instid1(VALU_DEP_3)
	v_fma_f64 v[42:43], v[50:51], s[16:17], v[40:41]
	v_fma_f64 v[46:47], v[56:57], s[14:15], -v[44:45]
	v_fma_f64 v[36:37], v[48:49], s[16:17], v[36:37]
	s_delay_alu instid0(VALU_DEP_4) | instskip(NEXT) | instid1(VALU_DEP_4)
	v_add_f64 v[38:39], v[38:39], v[110:111]
	v_add_f64 v[42:43], v[42:43], v[124:125]
	s_delay_alu instid0(VALU_DEP_3) | instskip(NEXT) | instid1(VALU_DEP_3)
	v_add_f64 v[28:29], v[36:37], v[28:29]
	v_add_f64 v[38:39], v[46:47], v[38:39]
	v_mul_f64 v[46:47], v[52:53], s[20:21]
	s_delay_alu instid0(VALU_DEP_1) | instskip(NEXT) | instid1(VALU_DEP_1)
	v_fma_f64 v[52:53], v[58:59], s[14:15], v[46:47]
	v_add_f64 v[42:43], v[52:53], v[42:43]
	v_mul_f64 v[52:53], v[78:79], s[34:35]
	v_mul_f64 v[78:79], v[84:85], s[18:19]
	s_delay_alu instid0(VALU_DEP_2) | instskip(SKIP_3) | instid1(VALU_DEP_4)
	v_fma_f64 v[54:55], v[80:81], s[12:13], -v[52:53]
	v_fma_f64 v[36:37], v[80:81], s[12:13], v[52:53]
	v_add_f64 v[80:81], v[60:61], -v[8:9]
	v_add_f64 v[52:53], v[70:71], v[14:15]
	v_add_f64 v[38:39], v[54:55], v[38:39]
	v_mul_f64 v[54:55], v[76:77], s[34:35]
	s_delay_alu instid0(VALU_DEP_4) | instskip(NEXT) | instid1(VALU_DEP_2)
	v_mul_f64 v[114:115], v[80:81], s[20:21]
	v_fma_f64 v[76:77], v[82:83], s[12:13], v[54:55]
	s_delay_alu instid0(VALU_DEP_1) | instskip(SKIP_2) | instid1(VALU_DEP_2)
	v_add_f64 v[42:43], v[76:77], v[42:43]
	v_mul_f64 v[76:77], v[86:87], s[18:19]
	v_add_f64 v[86:87], v[64:65], -v[20:21]
	v_fma_f64 v[84:85], v[92:93], s[0:1], -v[76:77]
	s_delay_alu instid0(VALU_DEP_2) | instskip(SKIP_1) | instid1(VALU_DEP_3)
	v_mul_f64 v[134:135], v[86:87], s[26:27]
	v_mul_f64 v[144:145], v[86:87], s[20:21]
	v_add_f64 v[204:205], v[84:85], v[38:39]
	v_fma_f64 v[38:39], v[94:95], s[0:1], v[78:79]
	v_add_f64 v[84:85], v[72:73], -v[16:17]
	s_delay_alu instid0(VALU_DEP_2)
	v_add_f64 v[206:207], v[38:39], v[42:43]
	v_fma_f64 v[38:39], v[50:51], s[16:17], -v[40:41]
	v_fma_f64 v[40:41], v[56:57], s[14:15], v[44:45]
	v_fma_f64 v[42:43], v[58:59], s[14:15], -v[46:47]
	v_add_f64 v[44:45], v[62:63], v[10:11]
	v_mul_f64 v[46:47], v[80:81], s[22:23]
	v_mul_f64 v[132:133], v[84:85], s[30:31]
	;; [unrolled: 1-line block ×3, first 2 shown]
	v_add_f64 v[30:31], v[38:39], v[30:31]
	v_add_f64 v[28:29], v[40:41], v[28:29]
	v_fma_f64 v[38:39], v[82:83], s[12:13], -v[54:55]
	v_fma_f64 v[40:41], v[92:93], s[0:1], v[76:77]
	v_add_f64 v[92:93], v[70:71], -v[14:15]
	v_add_f64 v[82:83], v[68:69], -v[12:13]
	v_add_f64 v[76:77], v[74:75], v[18:19]
	v_add_f64 v[30:31], v[42:43], v[30:31]
	v_add_f64 v[28:29], v[36:37], v[28:29]
	v_fma_f64 v[42:43], v[94:95], s[0:1], -v[78:79]
	v_add_f64 v[94:95], v[74:75], -v[18:19]
	v_mul_f64 v[78:79], v[84:85], s[20:21]
	v_mul_f64 v[54:55], v[82:83], s[18:19]
	;; [unrolled: 1-line block ×4, first 2 shown]
	v_add_f64 v[30:31], v[38:39], v[30:31]
	v_add_f64 v[208:209], v[40:41], v[28:29]
	v_fma_f64 v[28:29], v[96:97], s[16:17], v[98:99]
	v_fma_f64 v[40:41], v[44:45], s[12:13], -v[46:47]
	v_mul_f64 v[50:51], v[94:95], s[20:21]
	v_add_f64 v[210:211], v[42:43], v[30:31]
	v_mul_f64 v[30:31], v[90:91], s[22:23]
	v_add_f64 v[36:37], v[4:5], v[28:29]
	v_add_f64 v[28:29], v[60:61], v[8:9]
	v_mul_f64 v[42:43], v[92:93], s[18:19]
	s_delay_alu instid0(VALU_DEP_2) | instskip(NEXT) | instid1(VALU_DEP_1)
	v_fma_f64 v[38:39], v[28:29], s[12:13], v[30:31]
	v_add_f64 v[36:37], v[38:39], v[36:37]
	v_fma_f64 v[38:39], v[120:121], s[16:17], -v[122:123]
	s_delay_alu instid0(VALU_DEP_1) | instskip(NEXT) | instid1(VALU_DEP_1)
	v_add_f64 v[38:39], v[6:7], v[38:39]
	v_add_f64 v[38:39], v[40:41], v[38:39]
	;; [unrolled: 1-line block ×3, first 2 shown]
	s_delay_alu instid0(VALU_DEP_1) | instskip(NEXT) | instid1(VALU_DEP_1)
	v_fma_f64 v[48:49], v[40:41], s[0:1], v[42:43]
	v_add_f64 v[36:37], v[48:49], v[36:37]
	v_fma_f64 v[48:49], v[52:53], s[0:1], -v[54:55]
	s_delay_alu instid0(VALU_DEP_1) | instskip(SKIP_1) | instid1(VALU_DEP_1)
	v_add_f64 v[38:39], v[48:49], v[38:39]
	v_add_f64 v[48:49], v[72:73], v[16:17]
	v_fma_f64 v[56:57], v[48:49], s[14:15], v[50:51]
	s_delay_alu instid0(VALU_DEP_1) | instskip(SKIP_1) | instid1(VALU_DEP_1)
	v_add_f64 v[56:57], v[56:57], v[36:37]
	v_fma_f64 v[36:37], v[76:77], s[14:15], -v[78:79]
	v_add_f64 v[104:105], v[36:37], v[38:39]
	v_add_f64 v[36:37], v[64:65], v[20:21]
	v_mul_f64 v[38:39], v[102:103], s[28:29]
	s_delay_alu instid0(VALU_DEP_1) | instskip(NEXT) | instid1(VALU_DEP_1)
	v_fma_f64 v[58:59], v[36:37], s[8:9], v[38:39]
	v_add_f64 v[108:109], v[58:59], v[56:57]
	v_add_f64 v[56:57], v[66:67], v[22:23]
	v_mul_f64 v[58:59], v[86:87], s[28:29]
	s_delay_alu instid0(VALU_DEP_1) | instskip(NEXT) | instid1(VALU_DEP_1)
	v_fma_f64 v[106:107], v[56:57], s[8:9], -v[58:59]
	v_add_f64 v[110:111], v[106:107], v[104:105]
	v_fma_f64 v[104:105], v[96:97], s[12:13], v[158:159]
	scratch_store_b128 off, v[108:111], off offset:8 ; 16-byte Folded Spill
	v_add_f64 v[106:107], v[4:5], v[104:105]
	v_mul_f64 v[104:105], v[90:91], s[20:21]
	v_fma_f64 v[110:111], v[44:45], s[14:15], -v[114:115]
	s_delay_alu instid0(VALU_DEP_2) | instskip(NEXT) | instid1(VALU_DEP_1)
	v_fma_f64 v[108:109], v[28:29], s[14:15], v[104:105]
	v_add_f64 v[106:107], v[108:109], v[106:107]
	v_fma_f64 v[108:109], v[120:121], s[12:13], -v[160:161]
	s_delay_alu instid0(VALU_DEP_1) | instskip(NEXT) | instid1(VALU_DEP_1)
	v_add_f64 v[108:109], v[6:7], v[108:109]
	v_add_f64 v[110:111], v[110:111], v[108:109]
	v_mul_f64 v[108:109], v[92:93], s[36:37]
	s_delay_alu instid0(VALU_DEP_1) | instskip(NEXT) | instid1(VALU_DEP_1)
	v_fma_f64 v[112:113], v[40:41], s[8:9], v[108:109]
	v_add_f64 v[106:107], v[112:113], v[106:107]
	v_fma_f64 v[112:113], v[52:53], s[8:9], -v[126:127]
	s_delay_alu instid0(VALU_DEP_1) | instskip(SKIP_1) | instid1(VALU_DEP_1)
	v_add_f64 v[110:111], v[112:113], v[110:111]
	v_mul_f64 v[112:113], v[94:95], s[30:31]
	v_fma_f64 v[116:117], v[48:49], s[0:1], v[112:113]
	s_delay_alu instid0(VALU_DEP_1) | instskip(SKIP_1) | instid1(VALU_DEP_1)
	v_add_f64 v[106:107], v[116:117], v[106:107]
	v_fma_f64 v[116:117], v[76:77], s[0:1], -v[132:133]
	v_add_f64 v[116:117], v[116:117], v[110:111]
	v_mul_f64 v[110:111], v[102:103], s[26:27]
	s_delay_alu instid0(VALU_DEP_1) | instskip(NEXT) | instid1(VALU_DEP_1)
	v_fma_f64 v[118:119], v[36:37], s[16:17], v[110:111]
	v_add_f64 v[128:129], v[118:119], v[106:107]
	v_fma_f64 v[106:107], v[56:57], s[16:17], -v[134:135]
	s_delay_alu instid0(VALU_DEP_1)
	v_add_f64 v[130:131], v[106:107], v[116:117]
	v_fma_f64 v[106:107], v[96:97], s[0:1], v[162:163]
	scratch_store_b128 off, v[128:131], off offset:24 ; 16-byte Folded Spill
	v_add_f64 v[116:117], v[4:5], v[106:107]
	v_mul_f64 v[106:107], v[90:91], s[36:37]
	v_mul_f64 v[130:131], v[80:81], s[36:37]
	s_delay_alu instid0(VALU_DEP_2) | instskip(NEXT) | instid1(VALU_DEP_2)
	v_fma_f64 v[118:119], v[28:29], s[8:9], v[106:107]
	v_fma_f64 v[124:125], v[44:45], s[8:9], -v[130:131]
	s_delay_alu instid0(VALU_DEP_2) | instskip(SKIP_1) | instid1(VALU_DEP_1)
	v_add_f64 v[118:119], v[118:119], v[116:117]
	v_fma_f64 v[116:117], v[120:121], s[0:1], -v[164:165]
	v_add_f64 v[116:117], v[6:7], v[116:117]
	s_delay_alu instid0(VALU_DEP_1) | instskip(SKIP_1) | instid1(VALU_DEP_1)
	v_add_f64 v[124:125], v[124:125], v[116:117]
	v_mul_f64 v[116:117], v[92:93], s[34:35]
	v_fma_f64 v[128:129], v[40:41], s[12:13], v[116:117]
	s_delay_alu instid0(VALU_DEP_1) | instskip(SKIP_1) | instid1(VALU_DEP_1)
	v_add_f64 v[118:119], v[128:129], v[118:119]
	v_fma_f64 v[128:129], v[52:53], s[12:13], -v[136:137]
	v_add_f64 v[124:125], v[128:129], v[124:125]
	v_mul_f64 v[128:129], v[94:95], s[24:25]
	s_delay_alu instid0(VALU_DEP_1) | instskip(NEXT) | instid1(VALU_DEP_1)
	v_fma_f64 v[138:139], v[48:49], s[16:17], v[128:129]
	v_add_f64 v[138:139], v[138:139], v[118:119]
	v_fma_f64 v[118:119], v[76:77], s[16:17], -v[142:143]
	s_delay_alu instid0(VALU_DEP_1) | instskip(SKIP_1) | instid1(VALU_DEP_1)
	v_add_f64 v[124:125], v[118:119], v[124:125]
	v_mul_f64 v[118:119], v[102:103], s[20:21]
	v_fma_f64 v[140:141], v[36:37], s[14:15], v[118:119]
	s_delay_alu instid0(VALU_DEP_1) | instskip(SKIP_1) | instid1(VALU_DEP_1)
	v_add_f64 v[146:147], v[140:141], v[138:139]
	v_fma_f64 v[138:139], v[56:57], s[14:15], -v[144:145]
	v_add_f64 v[148:149], v[138:139], v[124:125]
	v_fma_f64 v[124:125], v[96:97], s[14:15], v[166:167]
	scratch_store_b128 off, v[146:149], off offset:40 ; 16-byte Folded Spill
	v_add_f64 v[138:139], v[4:5], v[124:125]
	v_mul_f64 v[124:125], v[90:91], s[30:31]
	v_mul_f64 v[148:149], v[80:81], s[30:31]
	s_delay_alu instid0(VALU_DEP_2) | instskip(NEXT) | instid1(VALU_DEP_2)
	v_fma_f64 v[140:141], v[28:29], s[0:1], v[124:125]
	v_fma_f64 v[146:147], v[44:45], s[0:1], -v[148:149]
	s_delay_alu instid0(VALU_DEP_2) | instskip(SKIP_1) | instid1(VALU_DEP_1)
	v_add_f64 v[140:141], v[140:141], v[138:139]
	v_fma_f64 v[138:139], v[120:121], s[14:15], -v[168:169]
	v_add_f64 v[138:139], v[6:7], v[138:139]
	s_delay_alu instid0(VALU_DEP_1) | instskip(SKIP_1) | instid1(VALU_DEP_1)
	v_add_f64 v[146:147], v[146:147], v[138:139]
	v_mul_f64 v[138:139], v[92:93], s[24:25]
	v_fma_f64 v[150:151], v[40:41], s[16:17], v[138:139]
	s_delay_alu instid0(VALU_DEP_1) | instskip(SKIP_1) | instid1(VALU_DEP_1)
	v_add_f64 v[140:141], v[150:151], v[140:141]
	v_mul_f64 v[150:151], v[82:83], s[24:25]
	v_fma_f64 v[154:155], v[52:53], s[16:17], -v[150:151]
	s_delay_alu instid0(VALU_DEP_1) | instskip(SKIP_1) | instid1(VALU_DEP_1)
	v_add_f64 v[156:157], v[154:155], v[146:147]
	v_mul_f64 v[146:147], v[94:95], s[28:29]
	v_fma_f64 v[154:155], v[48:49], s[8:9], v[146:147]
	s_delay_alu instid0(VALU_DEP_1) | instskip(SKIP_1) | instid1(VALU_DEP_1)
	v_add_f64 v[212:213], v[154:155], v[140:141]
	v_mul_f64 v[154:155], v[84:85], s[28:29]
	v_fma_f64 v[140:141], v[76:77], s[8:9], -v[154:155]
	;; [unrolled: 8-line block ×3, first 2 shown]
	s_delay_alu instid0(VALU_DEP_1)
	v_add_f64 v[219:220], v[212:213], v[214:215]
	scratch_store_b128 off, v[217:220], off offset:56 ; 16-byte Folded Spill
	s_waitcnt_vscnt null, 0x0
	s_barrier
	buffer_gl0_inv
	ds_store_b128 v171, v[32:35]
	ds_store_b128 v171, v[172:175] offset:16
	ds_store_b128 v171, v[180:183] offset:32
	;; [unrolled: 1-line block ×10, first 2 shown]
	v_add_co_u32 v172, s33, 0x63, v216
	s_delay_alu instid0(VALU_DEP_1) | instskip(NEXT) | instid1(VALU_DEP_2)
	v_add_co_ci_u32_e64 v32, null, 0, 0, s33
	v_mul_u32_u24_e32 v32, 11, v172
	scratch_store_b32 off, v32, off offset:796 ; 4-byte Folded Spill
	s_and_saveexec_b32 s33, vcc_lo
	s_cbranch_execz .LBB0_7
; %bb.6:
	v_add_f64 v[24:25], v[4:5], v[24:25]
	v_add_f64 v[26:27], v[6:7], v[26:27]
	v_mul_f64 v[32:33], v[120:121], s[14:15]
	v_mul_f64 v[34:35], v[120:121], s[0:1]
	s_delay_alu instid0(VALU_DEP_4) | instskip(NEXT) | instid1(VALU_DEP_4)
	v_add_f64 v[24:25], v[24:25], v[60:61]
	v_add_f64 v[26:27], v[26:27], v[62:63]
	v_mul_f64 v[62:63], v[96:97], s[12:13]
	v_mul_f64 v[60:61], v[120:121], s[12:13]
	v_add_f64 v[32:33], v[168:169], v[32:33]
	v_add_f64 v[34:35], v[164:165], v[34:35]
	;; [unrolled: 1-line block ×4, first 2 shown]
	v_mul_f64 v[70:71], v[100:101], s[28:29]
	v_add_f64 v[62:63], v[62:63], -v[158:159]
	v_mul_f64 v[68:69], v[120:121], s[16:17]
	v_add_f64 v[60:61], v[160:161], v[60:61]
	v_add_f64 v[32:33], v[6:7], v[32:33]
	;; [unrolled: 1-line block ×3, first 2 shown]
	v_mul_f64 v[100:101], v[40:41], s[8:9]
	v_add_f64 v[24:25], v[24:25], v[72:73]
	v_add_f64 v[26:27], v[26:27], v[74:75]
	v_mul_f64 v[74:75], v[96:97], s[16:17]
	v_fma_f64 v[72:73], v[96:97], s[8:9], v[70:71]
	v_fma_f64 v[70:71], v[96:97], s[8:9], -v[70:71]
	v_add_f64 v[68:69], v[122:123], v[68:69]
	v_add_f64 v[62:63], v[4:5], v[62:63]
	;; [unrolled: 1-line block ×3, first 2 shown]
	v_add_f64 v[100:101], v[100:101], -v[108:109]
	v_mul_f64 v[108:109], v[28:29], s[0:1]
	v_add_f64 v[24:25], v[24:25], v[64:65]
	v_add_f64 v[26:27], v[26:27], v[66:67]
	v_mul_f64 v[64:65], v[96:97], s[0:1]
	v_mul_f64 v[66:67], v[96:97], s[14:15]
	v_add_f64 v[74:75], v[74:75], -v[98:99]
	v_add_f64 v[72:73], v[4:5], v[72:73]
	v_add_f64 v[70:71], v[4:5], v[70:71]
	;; [unrolled: 1-line block ×3, first 2 shown]
	v_mul_f64 v[98:99], v[56:57], s[0:1]
	v_mul_f64 v[96:97], v[102:103], s[18:19]
	;; [unrolled: 1-line block ×3, first 2 shown]
	v_add_f64 v[108:109], v[108:109], -v[124:125]
	v_add_f64 v[20:21], v[24:25], v[20:21]
	v_mul_f64 v[24:25], v[120:121], s[8:9]
	v_add_f64 v[22:23], v[26:27], v[22:23]
	v_add_f64 v[64:65], v[64:65], -v[162:163]
	v_add_f64 v[66:67], v[66:67], -v[166:167]
	v_add_f64 v[74:75], v[4:5], v[74:75]
	v_mul_f64 v[120:121], v[36:37], s[12:13]
	v_add_f64 v[102:103], v[132:133], v[102:103]
	v_add_f64 v[16:17], v[20:21], v[16:17]
	v_fma_f64 v[26:27], v[152:153], s[36:37], v[24:25]
	v_mul_f64 v[20:21], v[44:45], s[16:17]
	v_fma_f64 v[24:25], v[152:153], s[28:29], v[24:25]
	v_add_f64 v[64:65], v[4:5], v[64:65]
	v_add_f64 v[66:67], v[4:5], v[66:67]
	;; [unrolled: 1-line block ×3, first 2 shown]
	v_mul_f64 v[22:23], v[90:91], s[26:27]
	v_add_f64 v[120:121], v[120:121], -v[140:141]
	v_add_f64 v[16:17], v[16:17], v[12:13]
	v_add_f64 v[26:27], v[6:7], v[26:27]
	v_fma_f64 v[4:5], v[80:81], s[24:25], v[20:21]
	v_add_f64 v[24:25], v[6:7], v[24:25]
	s_mov_b32 s25, 0x3fe82f19
	s_mov_b32 s24, s20
	v_mul_f64 v[12:13], v[44:45], s[14:15]
	v_fma_f64 v[6:7], v[28:29], s[16:17], v[22:23]
	v_add_f64 v[18:19], v[18:19], v[14:15]
	v_mul_f64 v[14:15], v[28:29], s[14:15]
	v_fma_f64 v[22:23], v[28:29], s[16:17], -v[22:23]
	v_fma_f64 v[20:21], v[80:81], s[26:27], v[20:21]
	v_add_f64 v[4:5], v[4:5], v[26:27]
	v_mul_f64 v[26:27], v[52:53], s[14:15]
	v_add_f64 v[12:13], v[114:115], v[12:13]
	v_add_f64 v[6:7], v[6:7], v[72:73]
	v_mul_f64 v[114:115], v[76:77], s[8:9]
	v_add_f64 v[14:15], v[14:15], -v[104:105]
	v_mul_f64 v[104:105], v[48:49], s[0:1]
	v_add_f64 v[20:21], v[20:21], v[24:25]
	v_add_f64 v[22:23], v[22:23], v[70:71]
	v_fma_f64 v[72:73], v[82:83], s[24:25], v[26:27]
	v_fma_f64 v[26:27], v[82:83], s[20:21], v[26:27]
	;; [unrolled: 1-line block ×3, first 2 shown]
	v_add_f64 v[12:13], v[12:13], v[60:61]
	v_mul_f64 v[60:61], v[56:57], s[16:17]
	v_add_f64 v[114:115], v[154:155], v[114:115]
	v_add_f64 v[14:15], v[14:15], v[62:63]
	v_add_f64 v[104:105], v[104:105], -v[112:113]
	v_mul_f64 v[62:63], v[36:37], s[16:17]
	v_mul_f64 v[112:113], v[40:41], s[16:17]
	v_add_f64 v[4:5], v[72:73], v[4:5]
	v_mul_f64 v[72:73], v[92:93], s[20:21]
	v_add_f64 v[20:21], v[26:27], v[20:21]
	v_add_f64 v[60:61], v[134:135], v[60:61]
	;; [unrolled: 1-line block ×3, first 2 shown]
	v_mul_f64 v[100:101], v[48:49], s[16:17]
	v_add_f64 v[62:63], v[62:63], -v[110:111]
	v_mul_f64 v[110:111], v[52:53], s[16:17]
	v_add_f64 v[112:113], v[112:113], -v[138:139]
	v_fma_f64 v[90:91], v[40:41], s[14:15], v[72:73]
	v_add_f64 v[100:101], v[100:101], -v[128:129]
	s_delay_alu instid0(VALU_DEP_4) | instskip(NEXT) | instid1(VALU_DEP_3)
	v_add_f64 v[110:111], v[150:151], v[110:111]
	v_add_f64 v[6:7], v[90:91], v[6:7]
	v_mul_f64 v[90:91], v[76:77], s[12:13]
	s_delay_alu instid0(VALU_DEP_1) | instskip(SKIP_1) | instid1(VALU_DEP_2)
	v_fma_f64 v[92:93], v[84:85], s[22:23], v[90:91]
	v_fma_f64 v[80:81], v[84:85], s[34:35], v[90:91]
	v_add_f64 v[4:5], v[92:93], v[4:5]
	v_mul_f64 v[92:93], v[94:95], s[34:35]
	s_delay_alu instid0(VALU_DEP_3) | instskip(NEXT) | instid1(VALU_DEP_2)
	v_add_f64 v[20:21], v[80:81], v[20:21]
	v_fma_f64 v[94:95], v[48:49], s[12:13], v[92:93]
	s_delay_alu instid0(VALU_DEP_1) | instskip(SKIP_1) | instid1(VALU_DEP_1)
	v_add_f64 v[94:95], v[94:95], v[6:7]
	v_fma_f64 v[6:7], v[86:87], s[30:31], v[98:99]
	v_add_f64 v[6:7], v[6:7], v[4:5]
	v_fma_f64 v[4:5], v[36:37], s[0:1], v[96:97]
	s_delay_alu instid0(VALU_DEP_1) | instskip(SKIP_1) | instid1(VALU_DEP_1)
	v_add_f64 v[4:5], v[4:5], v[94:95]
	v_mul_f64 v[94:95], v[52:53], s[8:9]
	v_add_f64 v[94:95], v[126:127], v[94:95]
	s_delay_alu instid0(VALU_DEP_1) | instskip(SKIP_2) | instid1(VALU_DEP_3)
	v_add_f64 v[12:13], v[94:95], v[12:13]
	v_add_f64 v[94:95], v[104:105], v[14:15]
	v_mul_f64 v[104:105], v[36:37], s[14:15]
	v_add_f64 v[12:13], v[102:103], v[12:13]
	v_mul_f64 v[102:103], v[56:57], s[14:15]
	s_delay_alu instid0(VALU_DEP_3) | instskip(SKIP_1) | instid1(VALU_DEP_4)
	v_add_f64 v[104:105], v[104:105], -v[118:119]
	v_mul_f64 v[118:119], v[56:57], s[12:13]
	v_add_f64 v[14:15], v[60:61], v[12:13]
	v_add_f64 v[60:61], v[18:19], v[10:11]
	v_mul_f64 v[10:11], v[28:29], s[8:9]
	v_add_f64 v[12:13], v[62:63], v[94:95]
	v_add_f64 v[62:63], v[16:17], v[8:9]
	v_mul_f64 v[8:9], v[44:45], s[8:9]
	v_mul_f64 v[28:29], v[28:29], s[12:13]
	;; [unrolled: 1-line block ×5, first 2 shown]
	v_add_f64 v[102:103], v[144:145], v[102:103]
	v_add_f64 v[118:119], v[156:157], v[118:119]
	;; [unrolled: 1-line block ×3, first 2 shown]
	v_add_f64 v[10:11], v[10:11], -v[106:107]
	v_mul_f64 v[106:107], v[44:45], s[0:1]
	v_mul_f64 v[44:45], v[44:45], s[12:13]
	v_add_f64 v[8:9], v[130:131], v[8:9]
	v_add_f64 v[28:29], v[28:29], -v[30:31]
	v_mul_f64 v[30:31], v[52:53], s[0:1]
	v_add_f64 v[16:17], v[136:137], v[16:17]
	v_add_f64 v[18:19], v[18:19], -v[116:117]
	v_mul_f64 v[116:117], v[48:49], s[8:9]
	v_fma_f64 v[52:53], v[48:49], s[12:13], -v[92:93]
	v_mul_f64 v[48:49], v[48:49], s[14:15]
	v_add_f64 v[94:95], v[142:143], v[94:95]
	v_add_f64 v[0:1], v[62:63], v[0:1]
	;; [unrolled: 1-line block ×5, first 2 shown]
	v_fma_f64 v[46:47], v[40:41], s[14:15], -v[72:73]
	v_mul_f64 v[40:41], v[40:41], s[0:1]
	v_add_f64 v[30:31], v[54:55], v[30:31]
	v_add_f64 v[8:9], v[8:9], v[34:35]
	;; [unrolled: 1-line block ×4, first 2 shown]
	v_add_f64 v[116:117], v[116:117], -v[146:147]
	v_add_f64 v[48:49], v[48:49], -v[50:51]
	v_add_f64 v[10:11], v[18:19], v[10:11]
	v_add_f64 v[32:33], v[106:107], v[32:33]
	;; [unrolled: 1-line block ×3, first 2 shown]
	v_mul_f64 v[44:45], v[56:57], s[8:9]
	v_add_f64 v[40:41], v[40:41], -v[42:43]
	v_mul_f64 v[42:43], v[76:77], s[14:15]
	v_add_f64 v[8:9], v[16:17], v[8:9]
	v_add_f64 v[22:23], v[46:47], v[22:23]
	;; [unrolled: 1-line block ×5, first 2 shown]
	v_mul_f64 v[30:31], v[36:37], s[8:9]
	v_add_f64 v[26:27], v[40:41], v[28:29]
	v_add_f64 v[42:43], v[78:79], v[42:43]
	;; [unrolled: 1-line block ×3, first 2 shown]
	v_fma_f64 v[28:29], v[36:37], s[0:1], -v[96:97]
	v_add_f64 v[8:9], v[94:95], v[8:9]
	v_add_f64 v[32:33], v[100:101], v[10:11]
	;; [unrolled: 1-line block ×6, first 2 shown]
	v_add_f64 v[30:31], v[30:31], -v[38:39]
	v_add_f64 v[38:39], v[48:49], v[26:27]
	v_add_f64 v[24:25], v[42:43], v[24:25]
	v_add_f64 v[10:11], v[102:103], v[8:9]
	v_add_f64 v[8:9], v[104:105], v[32:33]
	v_add_f64 v[20:21], v[28:29], v[36:37]
	v_mul_u32_u24_e32 v28, 11, v172
	s_delay_alu instid0(VALU_DEP_1)
	v_lshlrev_b32_e32 v28, 4, v28
	v_add_f64 v[18:19], v[118:119], v[16:17]
	v_add_f64 v[16:17], v[120:121], v[34:35]
	v_add_f64 v[26:27], v[44:45], v[24:25]
	v_add_f64 v[24:25], v[30:31], v[38:39]
	scratch_load_b128 v[29:32], off, off offset:40 ; 16-byte Folded Reload
	s_waitcnt vmcnt(0)
	ds_store_b128 v28, v[29:32] offset:128
	scratch_load_b128 v[29:32], off, off offset:24 ; 16-byte Folded Reload
	s_waitcnt vmcnt(0)
	ds_store_b128 v28, v[29:32] offset:144
	ds_store_b128 v28, v[12:15] offset:32
	;; [unrolled: 1-line block ×5, first 2 shown]
	scratch_load_b128 v[8:11], off, off offset:56 ; 16-byte Folded Reload
	s_waitcnt vmcnt(0)
	ds_store_b128 v28, v[8:11] offset:112
	ds_store_b128 v28, v[4:7] offset:96
	;; [unrolled: 1-line block ×3, first 2 shown]
	ds_store_b128 v28, v[0:3]
	scratch_load_b128 v[0:3], off, off offset:8 ; 16-byte Folded Reload
	s_waitcnt vmcnt(0)
	ds_store_b128 v28, v[0:3] offset:160
.LBB0_7:
	s_or_b32 exec_lo, exec_lo, s33
	v_add_co_u32 v48, null, 0xc6, v216
	v_add_nc_u32_e32 v50, 0x129, v216
	s_waitcnt lgkmcnt(0)
	s_waitcnt_vscnt null, 0x0
	s_barrier
	v_and_b32_e32 v49, 0xffff, v48
	buffer_gl0_inv
	v_and_b32_e32 v51, 0xffff, v50
	v_add_nc_u32_e32 v54, 0x18c, v216
	v_add_nc_u32_e32 v52, 0x1ef, v216
	v_mul_u32_u24_e32 v0, 0xba2f, v49
	v_and_b32_e32 v96, 0xff, v216
	v_mul_u32_u24_e32 v3, 0xba2f, v51
	v_and_b32_e32 v55, 0xffff, v54
	v_and_b32_e32 v53, 0xffff, v52
	v_lshrrev_b32_e32 v0, 19, v0
	v_and_b32_e32 v99, 0xff, v172
	v_lshrrev_b32_e32 v90, 19, v3
	s_mov_b32 s8, 0xe8584caa
	s_mov_b32 s9, 0x3febb67a
	v_mul_lo_u16 v1, v0, 11
	s_mov_b32 s13, 0xbfebb67a
	v_mul_lo_u16 v3, v90, 11
	s_mov_b32 s12, s8
	s_delay_alu instid0(VALU_DEP_2) | instskip(NEXT) | instid1(VALU_DEP_2)
	v_sub_nc_u16 v1, v48, v1
	v_sub_nc_u16 v91, v50, v3
	s_delay_alu instid0(VALU_DEP_2) | instskip(SKIP_1) | instid1(VALU_DEP_2)
	v_lshlrev_b16 v2, 1, v1
	v_mad_u16 v0, v0, 33, v1
	v_and_b32_e32 v2, 0xffff, v2
	s_delay_alu instid0(VALU_DEP_2) | instskip(NEXT) | instid1(VALU_DEP_2)
	v_and_b32_e32 v0, 0xffff, v0
	v_lshlrev_b32_e32 v2, 4, v2
	s_delay_alu instid0(VALU_DEP_2) | instskip(SKIP_4) | instid1(VALU_DEP_1)
	v_lshlrev_b32_e32 v0, 4, v0
	s_clause 0x1
	global_load_b128 v[26:29], v2, s[2:3]
	global_load_b128 v[30:33], v2, s[2:3] offset:16
	v_lshlrev_b16 v2, 1, v91
	v_and_b32_e32 v2, 0xffff, v2
	s_delay_alu instid0(VALU_DEP_1) | instskip(SKIP_4) | instid1(VALU_DEP_1)
	v_lshlrev_b32_e32 v2, 4, v2
	s_clause 0x1
	global_load_b128 v[34:37], v2, s[2:3]
	global_load_b128 v[56:59], v2, s[2:3] offset:16
	v_mul_u32_u24_e32 v2, 0xba2f, v55
	v_lshrrev_b32_e32 v92, 19, v2
	s_delay_alu instid0(VALU_DEP_1) | instskip(NEXT) | instid1(VALU_DEP_1)
	v_mul_lo_u16 v2, v92, 11
	v_sub_nc_u16 v93, v54, v2
	s_delay_alu instid0(VALU_DEP_1) | instskip(NEXT) | instid1(VALU_DEP_1)
	v_lshlrev_b16 v2, 1, v93
	v_and_b32_e32 v2, 0xffff, v2
	s_delay_alu instid0(VALU_DEP_1)
	v_lshlrev_b32_e32 v2, 4, v2
	s_clause 0x1
	global_load_b128 v[44:47], v2, s[2:3]
	global_load_b128 v[40:43], v2, s[2:3] offset:16
	ds_load_b128 v[2:5], v170 offset:12672
	ds_load_b128 v[6:9], v170 offset:14256
	;; [unrolled: 1-line block ×4, first 2 shown]
	s_waitcnt vmcnt(5) lgkmcnt(3)
	v_mul_f64 v[18:19], v[4:5], v[28:29]
	v_mul_f64 v[20:21], v[2:3], v[28:29]
	s_waitcnt vmcnt(4) lgkmcnt(1)
	v_mul_f64 v[22:23], v[12:13], v[32:33]
	v_mul_f64 v[24:25], v[10:11], v[32:33]
	s_clause 0x1
	scratch_store_b128 off, v[26:29], off offset:300
	scratch_store_b128 off, v[30:33], off offset:508
	s_waitcnt vmcnt(3)
	scratch_store_b128 off, v[34:37], off offset:524 ; 16-byte Folded Spill
	s_waitcnt vmcnt(2)
	scratch_store_b128 off, v[56:59], off offset:572 ; 16-byte Folded Spill
	v_fma_f64 v[18:19], v[2:3], v[26:27], -v[18:19]
	v_fma_f64 v[20:21], v[4:5], v[26:27], v[20:21]
	v_mul_f64 v[2:3], v[8:9], v[36:37]
	v_mul_f64 v[4:5], v[6:7], v[36:37]
	v_fma_f64 v[22:23], v[10:11], v[30:31], -v[22:23]
	s_waitcnt lgkmcnt(0)
	v_mul_f64 v[10:11], v[16:17], v[58:59]
	v_fma_f64 v[24:25], v[12:13], v[30:31], v[24:25]
	v_mul_f64 v[12:13], v[14:15], v[58:59]
	s_waitcnt vmcnt(1)
	scratch_store_b128 off, v[44:47], off offset:556 ; 16-byte Folded Spill
	v_fma_f64 v[26:27], v[6:7], v[34:35], -v[2:3]
	v_fma_f64 v[28:29], v[8:9], v[34:35], v[4:5]
	ds_load_b128 v[2:5], v170 offset:15840
	ds_load_b128 v[6:9], v170 offset:17424
	v_fma_f64 v[30:31], v[14:15], v[56:57], -v[10:11]
	v_fma_f64 v[32:33], v[16:17], v[56:57], v[12:13]
	s_waitcnt lgkmcnt(1)
	v_mul_f64 v[10:11], v[4:5], v[46:47]
	s_delay_alu instid0(VALU_DEP_1) | instskip(SKIP_1) | instid1(VALU_DEP_1)
	v_fma_f64 v[34:35], v[2:3], v[44:45], -v[10:11]
	v_mul_f64 v[2:3], v[2:3], v[46:47]
	v_fma_f64 v[36:37], v[4:5], v[44:45], v[2:3]
	ds_load_b128 v[2:5], v170 offset:25344
	ds_load_b128 v[10:13], v170 offset:26928
	s_waitcnt vmcnt(0)
	scratch_store_b128 off, v[40:43], off offset:540 ; 16-byte Folded Spill
	s_waitcnt lgkmcnt(1)
	v_mul_f64 v[14:15], v[4:5], v[42:43]
	s_delay_alu instid0(VALU_DEP_1) | instskip(SKIP_1) | instid1(VALU_DEP_1)
	v_fma_f64 v[38:39], v[2:3], v[40:41], -v[14:15]
	v_mul_f64 v[2:3], v[2:3], v[42:43]
	v_fma_f64 v[40:41], v[4:5], v[40:41], v[2:3]
	v_mul_u32_u24_e32 v2, 0xba2f, v53
	s_delay_alu instid0(VALU_DEP_1) | instskip(NEXT) | instid1(VALU_DEP_1)
	v_lshrrev_b32_e32 v94, 19, v2
	v_mul_lo_u16 v2, v94, 11
	s_delay_alu instid0(VALU_DEP_1) | instskip(NEXT) | instid1(VALU_DEP_1)
	v_sub_nc_u16 v95, v52, v2
	v_lshlrev_b16 v2, 1, v95
	s_delay_alu instid0(VALU_DEP_1) | instskip(NEXT) | instid1(VALU_DEP_1)
	v_and_b32_e32 v2, 0xffff, v2
	v_lshlrev_b32_e32 v2, 4, v2
	s_clause 0x1
	global_load_b128 v[42:45], v2, s[2:3]
	global_load_b128 v[14:17], v2, s[2:3] offset:16
	s_waitcnt vmcnt(1)
	v_mul_f64 v[2:3], v[8:9], v[44:45]
	scratch_store_b128 off, v[42:45], off offset:612 ; 16-byte Folded Spill
	s_waitcnt vmcnt(0)
	scratch_store_b128 off, v[14:17], off offset:592 ; 16-byte Folded Spill
	v_fma_f64 v[46:47], v[6:7], v[42:43], -v[2:3]
	v_mul_f64 v[2:3], v[6:7], v[44:45]
	s_delay_alu instid0(VALU_DEP_1) | instskip(SKIP_2) | instid1(VALU_DEP_1)
	v_fma_f64 v[76:77], v[8:9], v[42:43], v[2:3]
	s_waitcnt lgkmcnt(0)
	v_mul_f64 v[2:3], v[12:13], v[16:17]
	v_fma_f64 v[78:79], v[10:11], v[14:15], -v[2:3]
	v_mul_f64 v[2:3], v[10:11], v[16:17]
	s_delay_alu instid0(VALU_DEP_1) | instskip(SKIP_1) | instid1(VALU_DEP_1)
	v_fma_f64 v[80:81], v[12:13], v[14:15], v[2:3]
	v_mul_lo_u16 v2, 0x75, v96
	v_lshrrev_b16 v2, 8, v2
	s_delay_alu instid0(VALU_DEP_1) | instskip(NEXT) | instid1(VALU_DEP_1)
	v_sub_nc_u16 v3, v216, v2
	v_lshrrev_b16 v3, 1, v3
	s_delay_alu instid0(VALU_DEP_1) | instskip(NEXT) | instid1(VALU_DEP_1)
	v_and_b32_e32 v3, 0x7f, v3
	v_add_nc_u16 v2, v3, v2
	s_delay_alu instid0(VALU_DEP_1) | instskip(NEXT) | instid1(VALU_DEP_1)
	v_lshrrev_b16 v97, 3, v2
	v_mul_lo_u16 v2, v97, 11
	v_add_f64 v[86:87], v[76:77], -v[80:81]
	s_delay_alu instid0(VALU_DEP_2) | instskip(NEXT) | instid1(VALU_DEP_1)
	v_sub_nc_u16 v2, v216, v2
	v_and_b32_e32 v98, 0xff, v2
	s_delay_alu instid0(VALU_DEP_1)
	v_lshlrev_b32_e32 v2, 5, v98
	s_clause 0x1
	global_load_b128 v[12:15], v2, s[2:3]
	global_load_b128 v[42:45], v2, s[2:3] offset:16
	ds_load_b128 v[2:5], v170 offset:9504
	ds_load_b128 v[6:9], v170 offset:11088
	s_waitcnt vmcnt(1) lgkmcnt(1)
	v_mul_f64 v[10:11], v[4:5], v[14:15]
	scratch_store_b128 off, v[12:15], off offset:652 ; 16-byte Folded Spill
	v_fma_f64 v[60:61], v[2:3], v[12:13], -v[10:11]
	v_mul_f64 v[2:3], v[2:3], v[14:15]
	s_delay_alu instid0(VALU_DEP_1)
	v_fma_f64 v[62:63], v[4:5], v[12:13], v[2:3]
	ds_load_b128 v[2:5], v170 offset:19008
	ds_load_b128 v[10:13], v170 offset:20592
	s_waitcnt vmcnt(0)
	scratch_store_b128 off, v[42:45], off offset:636 ; 16-byte Folded Spill
	s_waitcnt lgkmcnt(1)
	v_mul_f64 v[14:15], v[4:5], v[44:45]
	s_delay_alu instid0(VALU_DEP_1) | instskip(SKIP_1) | instid1(VALU_DEP_2)
	v_fma_f64 v[64:65], v[2:3], v[42:43], -v[14:15]
	v_mul_f64 v[2:3], v[2:3], v[44:45]
	v_add_f64 v[82:83], v[60:61], v[64:65]
	s_delay_alu instid0(VALU_DEP_2) | instskip(SKIP_1) | instid1(VALU_DEP_1)
	v_fma_f64 v[66:67], v[4:5], v[42:43], v[2:3]
	v_mul_lo_u16 v2, 0x75, v99
	v_lshrrev_b16 v2, 8, v2
	s_delay_alu instid0(VALU_DEP_1) | instskip(NEXT) | instid1(VALU_DEP_1)
	v_sub_nc_u16 v3, v172, v2
	v_lshrrev_b16 v3, 1, v3
	s_delay_alu instid0(VALU_DEP_1) | instskip(NEXT) | instid1(VALU_DEP_1)
	v_and_b32_e32 v3, 0x7f, v3
	v_add_nc_u16 v2, v3, v2
	s_delay_alu instid0(VALU_DEP_1) | instskip(NEXT) | instid1(VALU_DEP_1)
	v_lshrrev_b16 v100, 3, v2
	v_mul_lo_u16 v2, v100, 11
	v_add_f64 v[84:85], v[62:63], v[66:67]
	s_delay_alu instid0(VALU_DEP_2) | instskip(NEXT) | instid1(VALU_DEP_1)
	v_sub_nc_u16 v2, v172, v2
	v_and_b32_e32 v101, 0xff, v2
	s_delay_alu instid0(VALU_DEP_1)
	v_lshlrev_b32_e32 v2, 5, v101
	s_clause 0x1
	global_load_b128 v[42:45], v2, s[2:3]
	global_load_b128 v[14:17], v2, s[2:3] offset:16
	s_waitcnt vmcnt(1)
	v_mul_f64 v[2:3], v[8:9], v[44:45]
	scratch_store_b128 off, v[42:45], off offset:692 ; 16-byte Folded Spill
	s_waitcnt vmcnt(0)
	scratch_store_b128 off, v[14:17], off offset:676 ; 16-byte Folded Spill
	v_fma_f64 v[68:69], v[6:7], v[42:43], -v[2:3]
	v_mul_f64 v[2:3], v[6:7], v[44:45]
	v_add_f64 v[44:45], v[36:37], v[40:41]
	s_delay_alu instid0(VALU_DEP_2) | instskip(SKIP_3) | instid1(VALU_DEP_2)
	v_fma_f64 v[70:71], v[8:9], v[42:43], v[2:3]
	s_waitcnt lgkmcnt(0)
	v_mul_f64 v[2:3], v[12:13], v[16:17]
	v_add_f64 v[42:43], v[34:35], v[38:39]
	v_fma_f64 v[72:73], v[10:11], v[14:15], -v[2:3]
	v_mul_f64 v[2:3], v[10:11], v[16:17]
	v_add_f64 v[10:11], v[18:19], v[22:23]
	s_delay_alu instid0(VALU_DEP_2)
	v_fma_f64 v[74:75], v[12:13], v[14:15], v[2:3]
	ds_load_b128 v[2:5], v170 offset:3168
	ds_load_b128 v[6:9], v170 offset:4752
	v_add_f64 v[14:15], v[20:21], -v[24:25]
	s_waitcnt lgkmcnt(1)
	v_fma_f64 v[12:13], v[10:11], -0.5, v[2:3]
	v_add_f64 v[10:11], v[20:21], v[24:25]
	v_add_f64 v[2:3], v[2:3], v[18:19]
	v_add_f64 v[18:19], v[18:19], -v[22:23]
	s_delay_alu instid0(VALU_DEP_3)
	v_fma_f64 v[16:17], v[10:11], -0.5, v[4:5]
	v_fma_f64 v[10:11], v[14:15], s[8:9], v[12:13]
	v_fma_f64 v[14:15], v[14:15], s[12:13], v[12:13]
	v_add_f64 v[4:5], v[4:5], v[20:21]
	v_add_f64 v[2:3], v[2:3], v[22:23]
	v_add_f64 v[22:23], v[28:29], -v[32:33]
	v_fma_f64 v[12:13], v[18:19], s[12:13], v[16:17]
	v_fma_f64 v[16:17], v[18:19], s[8:9], v[16:17]
	v_add_f64 v[18:19], v[26:27], v[30:31]
	v_add_f64 v[4:5], v[4:5], v[24:25]
	s_waitcnt lgkmcnt(0)
	s_delay_alu instid0(VALU_DEP_2) | instskip(SKIP_3) | instid1(VALU_DEP_3)
	v_fma_f64 v[20:21], v[18:19], -0.5, v[6:7]
	v_add_f64 v[18:19], v[28:29], v[32:33]
	v_add_f64 v[6:7], v[6:7], v[26:27]
	v_add_f64 v[26:27], v[26:27], -v[30:31]
	v_fma_f64 v[24:25], v[18:19], -0.5, v[8:9]
	v_add_f64 v[8:9], v[8:9], v[28:29]
	s_delay_alu instid0(VALU_DEP_4)
	v_add_f64 v[6:7], v[6:7], v[30:31]
	v_fma_f64 v[18:19], v[22:23], s[8:9], v[20:21]
	v_fma_f64 v[22:23], v[22:23], s[12:13], v[20:21]
	;; [unrolled: 1-line block ×3, first 2 shown]
	v_add_f64 v[8:9], v[8:9], v[32:33]
	v_fma_f64 v[24:25], v[26:27], s[8:9], v[24:25]
	ds_load_b128 v[26:29], v170 offset:6336
	ds_load_b128 v[30:33], v170 offset:7920
	s_waitcnt lgkmcnt(1)
	v_fma_f64 v[44:45], v[44:45], -0.5, v[28:29]
	v_add_f64 v[28:29], v[28:29], v[36:37]
	v_fma_f64 v[42:43], v[42:43], -0.5, v[26:27]
	v_add_f64 v[26:27], v[26:27], v[34:35]
	v_add_f64 v[36:37], v[36:37], -v[40:41]
	s_delay_alu instid0(VALU_DEP_4) | instskip(SKIP_1) | instid1(VALU_DEP_4)
	v_add_f64 v[28:29], v[28:29], v[40:41]
	v_add_f64 v[40:41], v[34:35], -v[38:39]
	v_add_f64 v[26:27], v[26:27], v[38:39]
	s_delay_alu instid0(VALU_DEP_4) | instskip(SKIP_1) | instid1(VALU_DEP_4)
	v_fma_f64 v[34:35], v[36:37], s[8:9], v[42:43]
	v_fma_f64 v[38:39], v[36:37], s[12:13], v[42:43]
	;; [unrolled: 1-line block ×4, first 2 shown]
	ds_load_b128 v[42:45], v170
	ds_load_b128 v[56:59], v170 offset:1584
	s_waitcnt lgkmcnt(0)
	s_waitcnt_vscnt null, 0x0
	s_barrier
	buffer_gl0_inv
	v_fma_f64 v[84:85], v[84:85], -0.5, v[44:45]
	v_add_f64 v[44:45], v[44:45], v[62:63]
	v_fma_f64 v[82:83], v[82:83], -0.5, v[42:43]
	v_add_f64 v[42:43], v[42:43], v[60:61]
	v_add_f64 v[62:63], v[62:63], -v[66:67]
	s_delay_alu instid0(VALU_DEP_4) | instskip(SKIP_1) | instid1(VALU_DEP_4)
	v_add_f64 v[44:45], v[44:45], v[66:67]
	v_add_f64 v[66:67], v[60:61], -v[64:65]
	v_add_f64 v[42:43], v[42:43], v[64:65]
	s_delay_alu instid0(VALU_DEP_4)
	v_fma_f64 v[60:61], v[62:63], s[8:9], v[82:83]
	v_fma_f64 v[64:65], v[62:63], s[12:13], v[82:83]
	v_add_f64 v[82:83], v[68:69], v[72:73]
	v_fma_f64 v[62:63], v[66:67], s[12:13], v[84:85]
	v_fma_f64 v[66:67], v[66:67], s[8:9], v[84:85]
	v_add_f64 v[84:85], v[70:71], v[74:75]
	s_delay_alu instid0(VALU_DEP_4) | instskip(SKIP_1) | instid1(VALU_DEP_3)
	v_fma_f64 v[82:83], v[82:83], -0.5, v[56:57]
	v_add_f64 v[56:57], v[56:57], v[68:69]
	v_fma_f64 v[84:85], v[84:85], -0.5, v[58:59]
	v_add_f64 v[58:59], v[58:59], v[70:71]
	v_add_f64 v[70:71], v[70:71], -v[74:75]
	s_delay_alu instid0(VALU_DEP_4) | instskip(NEXT) | instid1(VALU_DEP_3)
	v_add_f64 v[56:57], v[56:57], v[72:73]
	v_add_f64 v[58:59], v[58:59], v[74:75]
	v_add_f64 v[74:75], v[68:69], -v[72:73]
	s_delay_alu instid0(VALU_DEP_4) | instskip(SKIP_2) | instid1(VALU_DEP_4)
	v_fma_f64 v[68:69], v[70:71], s[8:9], v[82:83]
	v_fma_f64 v[72:73], v[70:71], s[12:13], v[82:83]
	v_add_f64 v[82:83], v[46:47], v[78:79]
	v_fma_f64 v[70:71], v[74:75], s[12:13], v[84:85]
	v_fma_f64 v[74:75], v[74:75], s[8:9], v[84:85]
	v_add_f64 v[84:85], v[76:77], v[80:81]
	s_delay_alu instid0(VALU_DEP_4) | instskip(SKIP_2) | instid1(VALU_DEP_4)
	v_fma_f64 v[82:83], v[82:83], -0.5, v[30:31]
	v_add_f64 v[30:31], v[30:31], v[46:47]
	v_add_f64 v[46:47], v[46:47], -v[78:79]
	v_fma_f64 v[84:85], v[84:85], -0.5, v[32:33]
	v_add_f64 v[32:33], v[32:33], v[76:77]
	s_delay_alu instid0(VALU_DEP_4) | instskip(SKIP_1) | instid1(VALU_DEP_4)
	v_add_f64 v[30:31], v[30:31], v[78:79]
	v_fma_f64 v[76:77], v[86:87], s[8:9], v[82:83]
	v_fma_f64 v[78:79], v[46:47], s[12:13], v[84:85]
	s_delay_alu instid0(VALU_DEP_4) | instskip(SKIP_3) | instid1(VALU_DEP_1)
	v_add_f64 v[32:33], v[32:33], v[80:81]
	v_fma_f64 v[80:81], v[86:87], s[12:13], v[82:83]
	v_fma_f64 v[82:83], v[46:47], s[8:9], v[84:85]
	v_and_b32_e32 v46, 0xffff, v97
	v_mul_u32_u24_e32 v46, 33, v46
	s_delay_alu instid0(VALU_DEP_1)
	v_add_lshl_u32 v46, v46, v98, 4
	ds_store_b128 v46, v[42:45]
	ds_store_b128 v46, v[60:63] offset:176
	v_and_b32_e32 v42, 0xffff, v100
	scratch_store_b32 off, v46, off offset:672 ; 4-byte Folded Spill
	ds_store_b128 v46, v[64:67] offset:352
	v_mul_u32_u24_e32 v42, 33, v42
	s_delay_alu instid0(VALU_DEP_1)
	v_add_lshl_u32 v42, v42, v101, 4
	ds_store_b128 v42, v[56:59]
	ds_store_b128 v42, v[68:71] offset:176
	scratch_store_b32 off, v42, off offset:668 ; 4-byte Folded Spill
	ds_store_b128 v42, v[72:75] offset:352
	ds_store_b128 v0, v[2:5]
	ds_store_b128 v0, v[10:13] offset:176
	scratch_store_b32 off, v0, off offset:632 ; 4-byte Folded Spill
	ds_store_b128 v0, v[14:17] offset:352
	v_mad_u16 v0, v90, 33, v91
	s_delay_alu instid0(VALU_DEP_1) | instskip(NEXT) | instid1(VALU_DEP_1)
	v_and_b32_e32 v0, 0xffff, v0
	v_lshlrev_b32_e32 v0, 4, v0
	ds_store_b128 v0, v[6:9]
	ds_store_b128 v0, v[18:21] offset:176
	scratch_store_b32 off, v0, off offset:628 ; 4-byte Folded Spill
	ds_store_b128 v0, v[22:25] offset:352
	v_mad_u16 v0, v92, 33, v93
	s_delay_alu instid0(VALU_DEP_1) | instskip(NEXT) | instid1(VALU_DEP_1)
	v_and_b32_e32 v0, 0xffff, v0
	v_lshlrev_b32_e32 v0, 4, v0
	;; [unrolled: 8-line block ×3, first 2 shown]
	ds_store_b128 v0, v[30:33]
	ds_store_b128 v0, v[76:79] offset:176
	scratch_store_b32 off, v0, off offset:588 ; 4-byte Folded Spill
	ds_store_b128 v0, v[80:83] offset:352
	v_mul_lo_u16 v0, 0xf9, v96
	s_waitcnt lgkmcnt(0)
	s_waitcnt_vscnt null, 0x0
	s_barrier
	buffer_gl0_inv
	v_lshrrev_b16 v56, 13, v0
	s_delay_alu instid0(VALU_DEP_1) | instskip(NEXT) | instid1(VALU_DEP_1)
	v_mul_lo_u16 v0, v56, 33
	v_sub_nc_u16 v0, v216, v0
	s_delay_alu instid0(VALU_DEP_1) | instskip(NEXT) | instid1(VALU_DEP_1)
	v_and_b32_e32 v57, 0xff, v0
	v_lshlrev_b32_e32 v0, 5, v57
	s_clause 0x1
	global_load_b128 v[12:15], v0, s[2:3] offset:352
	global_load_b128 v[20:23], v0, s[2:3] offset:368
	ds_load_b128 v[2:5], v170 offset:9504
	ds_load_b128 v[8:11], v170 offset:11088
	s_waitcnt vmcnt(1) lgkmcnt(1)
	v_mul_f64 v[0:1], v[4:5], v[14:15]
	scratch_store_b128 off, v[12:15], off offset:332 ; 16-byte Folded Spill
	v_fma_f64 v[0:1], v[2:3], v[12:13], -v[0:1]
	v_mul_f64 v[2:3], v[2:3], v[14:15]
	s_delay_alu instid0(VALU_DEP_1)
	v_fma_f64 v[2:3], v[4:5], v[12:13], v[2:3]
	ds_load_b128 v[12:15], v170 offset:19008
	ds_load_b128 v[16:19], v170 offset:20592
	s_waitcnt vmcnt(0)
	scratch_store_b128 off, v[20:23], off offset:380 ; 16-byte Folded Spill
	s_waitcnt lgkmcnt(1)
	v_mul_f64 v[4:5], v[14:15], v[22:23]
	s_delay_alu instid0(VALU_DEP_1) | instskip(SKIP_1) | instid1(VALU_DEP_1)
	v_fma_f64 v[6:7], v[12:13], v[20:21], -v[4:5]
	v_mul_f64 v[4:5], v[12:13], v[22:23]
	v_fma_f64 v[12:13], v[14:15], v[20:21], v[4:5]
	v_mul_lo_u16 v4, 0xf9, v99
	s_delay_alu instid0(VALU_DEP_1) | instskip(NEXT) | instid1(VALU_DEP_1)
	v_lshrrev_b16 v58, 13, v4
	v_mul_lo_u16 v4, v58, 33
	s_delay_alu instid0(VALU_DEP_1) | instskip(NEXT) | instid1(VALU_DEP_1)
	v_sub_nc_u16 v4, v172, v4
	v_and_b32_e32 v59, 0xff, v4
	s_delay_alu instid0(VALU_DEP_1)
	v_lshlrev_b32_e32 v4, 5, v59
	s_clause 0x1
	global_load_b128 v[24:27], v4, s[2:3] offset:352
	global_load_b128 v[20:23], v4, s[2:3] offset:368
	s_waitcnt vmcnt(1)
	v_mul_f64 v[4:5], v[10:11], v[26:27]
	s_waitcnt vmcnt(0) lgkmcnt(0)
	v_mul_f64 v[14:15], v[16:17], v[22:23]
	s_clause 0x1
	scratch_store_b128 off, v[24:27], off offset:444
	scratch_store_b128 off, v[20:23], off offset:428
	v_fma_f64 v[4:5], v[8:9], v[24:25], -v[4:5]
	v_mul_f64 v[8:9], v[8:9], v[26:27]
	v_fma_f64 v[14:15], v[18:19], v[20:21], v[14:15]
	s_delay_alu instid0(VALU_DEP_2) | instskip(SKIP_1) | instid1(VALU_DEP_1)
	v_fma_f64 v[10:11], v[10:11], v[24:25], v[8:9]
	v_mul_f64 v[8:9], v[18:19], v[22:23]
	v_fma_f64 v[8:9], v[16:17], v[20:21], -v[8:9]
	v_mul_u32_u24_e32 v16, 0xf83f, v49
	s_delay_alu instid0(VALU_DEP_1) | instskip(NEXT) | instid1(VALU_DEP_1)
	v_lshrrev_b32_e32 v60, 21, v16
	v_mul_lo_u16 v16, v60, 33
	s_delay_alu instid0(VALU_DEP_1) | instskip(NEXT) | instid1(VALU_DEP_1)
	v_sub_nc_u16 v61, v48, v16
	v_lshlrev_b16 v16, 5, v61
	s_delay_alu instid0(VALU_DEP_1) | instskip(NEXT) | instid1(VALU_DEP_1)
	v_and_b32_e32 v16, 0xffff, v16
	v_add_co_u32 v16, s0, s2, v16
	s_delay_alu instid0(VALU_DEP_1)
	v_add_co_ci_u32_e64 v17, null, s3, 0, s0
	s_clause 0x1
	global_load_b128 v[22:25], v[16:17], off offset:352
	global_load_b128 v[34:37], v[16:17], off offset:368
	ds_load_b128 v[18:21], v170 offset:12672
	ds_load_b128 v[26:29], v170 offset:14256
	s_waitcnt vmcnt(1) lgkmcnt(1)
	v_mul_f64 v[16:17], v[20:21], v[24:25]
	scratch_store_b128 off, v[22:25], off offset:412 ; 16-byte Folded Spill
	v_fma_f64 v[16:17], v[18:19], v[22:23], -v[16:17]
	v_mul_f64 v[18:19], v[18:19], v[24:25]
	s_delay_alu instid0(VALU_DEP_1)
	v_fma_f64 v[18:19], v[20:21], v[22:23], v[18:19]
	ds_load_b128 v[22:25], v170 offset:22176
	ds_load_b128 v[30:33], v170 offset:23760
	s_waitcnt vmcnt(0)
	scratch_store_b128 off, v[34:37], off offset:396 ; 16-byte Folded Spill
	s_waitcnt lgkmcnt(1)
	v_mul_f64 v[20:21], v[24:25], v[36:37]
	s_delay_alu instid0(VALU_DEP_1) | instskip(SKIP_1) | instid1(VALU_DEP_1)
	v_fma_f64 v[20:21], v[22:23], v[34:35], -v[20:21]
	v_mul_f64 v[22:23], v[22:23], v[36:37]
	v_fma_f64 v[24:25], v[24:25], v[34:35], v[22:23]
	v_mul_u32_u24_e32 v22, 0xf83f, v51
	s_delay_alu instid0(VALU_DEP_1) | instskip(NEXT) | instid1(VALU_DEP_1)
	v_lshrrev_b32_e32 v62, 21, v22
	v_mul_lo_u16 v22, v62, 33
	s_delay_alu instid0(VALU_DEP_1) | instskip(NEXT) | instid1(VALU_DEP_1)
	v_sub_nc_u16 v63, v50, v22
	v_lshlrev_b16 v22, 5, v63
	s_delay_alu instid0(VALU_DEP_1) | instskip(NEXT) | instid1(VALU_DEP_1)
	v_and_b32_e32 v22, 0xffff, v22
	v_add_co_u32 v22, s0, s2, v22
	s_delay_alu instid0(VALU_DEP_1)
	v_add_co_ci_u32_e64 v23, null, s3, 0, s0
	s_clause 0x1
	global_load_b128 v[38:41], v[22:23], off offset:352
	global_load_b128 v[34:37], v[22:23], off offset:368
	s_waitcnt vmcnt(1)
	v_mul_f64 v[22:23], v[28:29], v[40:41]
	scratch_store_b128 off, v[38:41], off offset:492 ; 16-byte Folded Spill
	s_waitcnt vmcnt(0)
	scratch_store_b128 off, v[34:37], off offset:460 ; 16-byte Folded Spill
	v_fma_f64 v[22:23], v[26:27], v[38:39], -v[22:23]
	v_mul_f64 v[26:27], v[26:27], v[40:41]
	s_delay_alu instid0(VALU_DEP_1) | instskip(SKIP_2) | instid1(VALU_DEP_1)
	v_fma_f64 v[28:29], v[28:29], v[38:39], v[26:27]
	s_waitcnt lgkmcnt(0)
	v_mul_f64 v[26:27], v[32:33], v[36:37]
	v_fma_f64 v[26:27], v[30:31], v[34:35], -v[26:27]
	v_mul_f64 v[30:31], v[30:31], v[36:37]
	s_delay_alu instid0(VALU_DEP_1) | instskip(SKIP_1) | instid1(VALU_DEP_1)
	v_fma_f64 v[30:31], v[32:33], v[34:35], v[30:31]
	v_mul_u32_u24_e32 v32, 0xf83f, v55
	v_lshrrev_b32_e32 v64, 21, v32
	s_delay_alu instid0(VALU_DEP_1) | instskip(NEXT) | instid1(VALU_DEP_1)
	v_mul_lo_u16 v32, v64, 33
	v_sub_nc_u16 v65, v54, v32
	s_delay_alu instid0(VALU_DEP_1) | instskip(NEXT) | instid1(VALU_DEP_1)
	v_lshlrev_b16 v32, 5, v65
	v_and_b32_e32 v32, 0xffff, v32
	s_delay_alu instid0(VALU_DEP_1) | instskip(NEXT) | instid1(VALU_DEP_1)
	v_add_co_u32 v32, s0, s2, v32
	v_add_co_ci_u32_e64 v33, null, s3, 0, s0
	s_clause 0x1
	global_load_b128 v[38:41], v[32:33], off offset:352
	global_load_b128 v[72:75], v[32:33], off offset:368
	ds_load_b128 v[34:37], v170 offset:15840
	ds_load_b128 v[42:45], v170 offset:17424
	s_waitcnt vmcnt(1) lgkmcnt(1)
	v_mul_f64 v[32:33], v[36:37], v[40:41]
	scratch_store_b128 off, v[38:41], off offset:476 ; 16-byte Folded Spill
	v_fma_f64 v[32:33], v[34:35], v[38:39], -v[32:33]
	v_mul_f64 v[34:35], v[34:35], v[40:41]
	s_delay_alu instid0(VALU_DEP_1)
	v_fma_f64 v[34:35], v[36:37], v[38:39], v[34:35]
	ds_load_b128 v[38:41], v170 offset:25344
	ds_load_b128 v[68:71], v170 offset:26928
	s_waitcnt vmcnt(0)
	scratch_store_b128 off, v[72:75], off offset:316 ; 16-byte Folded Spill
	s_waitcnt lgkmcnt(1)
	v_mul_f64 v[36:37], v[40:41], v[74:75]
	s_delay_alu instid0(VALU_DEP_1) | instskip(SKIP_1) | instid1(VALU_DEP_1)
	v_fma_f64 v[36:37], v[38:39], v[72:73], -v[36:37]
	v_mul_f64 v[38:39], v[38:39], v[74:75]
	v_fma_f64 v[40:41], v[40:41], v[72:73], v[38:39]
	v_mul_u32_u24_e32 v38, 0xf83f, v53
	s_delay_alu instid0(VALU_DEP_1) | instskip(NEXT) | instid1(VALU_DEP_1)
	v_lshrrev_b32_e32 v66, 21, v38
	v_mul_lo_u16 v38, v66, 33
	s_delay_alu instid0(VALU_DEP_1) | instskip(NEXT) | instid1(VALU_DEP_1)
	v_sub_nc_u16 v67, v52, v38
	v_lshlrev_b16 v38, 5, v67
	s_delay_alu instid0(VALU_DEP_1) | instskip(NEXT) | instid1(VALU_DEP_1)
	v_and_b32_e32 v38, 0xffff, v38
	v_add_co_u32 v38, s0, s2, v38
	s_delay_alu instid0(VALU_DEP_1)
	v_add_co_ci_u32_e64 v39, null, s3, 0, s0
	s_clause 0x1
	global_load_b128 v[76:79], v[38:39], off offset:352
	global_load_b128 v[72:75], v[38:39], off offset:368
	s_waitcnt vmcnt(1)
	v_mul_f64 v[38:39], v[44:45], v[78:79]
	s_waitcnt vmcnt(0) lgkmcnt(0)
	v_mul_f64 v[46:47], v[68:69], v[74:75]
	s_clause 0x1
	scratch_store_b128 off, v[76:79], off offset:364
	scratch_store_b128 off, v[72:75], off offset:348
	v_fma_f64 v[38:39], v[42:43], v[76:77], -v[38:39]
	v_mul_f64 v[42:43], v[42:43], v[78:79]
	v_fma_f64 v[46:47], v[70:71], v[72:73], v[46:47]
	v_add_f64 v[78:79], v[2:3], v[12:13]
	s_delay_alu instid0(VALU_DEP_3) | instskip(SKIP_2) | instid1(VALU_DEP_3)
	v_fma_f64 v[44:45], v[44:45], v[76:77], v[42:43]
	v_mul_f64 v[42:43], v[70:71], v[74:75]
	v_add_f64 v[76:77], v[0:1], v[6:7]
	v_add_f64 v[94:95], v[44:45], -v[46:47]
	s_delay_alu instid0(VALU_DEP_3)
	v_fma_f64 v[42:43], v[68:69], v[72:73], -v[42:43]
	ds_load_b128 v[68:71], v170
	ds_load_b128 v[72:75], v170 offset:1584
	s_waitcnt lgkmcnt(1)
	v_fma_f64 v[76:77], v[76:77], -0.5, v[68:69]
	v_add_f64 v[68:69], v[68:69], v[0:1]
	v_fma_f64 v[78:79], v[78:79], -0.5, v[70:71]
	v_add_f64 v[70:71], v[70:71], v[2:3]
	v_add_f64 v[2:3], v[2:3], -v[12:13]
	s_delay_alu instid0(VALU_DEP_4) | instskip(SKIP_1) | instid1(VALU_DEP_4)
	v_add_f64 v[68:69], v[68:69], v[6:7]
	v_add_f64 v[6:7], v[0:1], -v[6:7]
	v_add_f64 v[70:71], v[70:71], v[12:13]
	s_delay_alu instid0(VALU_DEP_4)
	v_fma_f64 v[0:1], v[2:3], s[8:9], v[76:77]
	v_fma_f64 v[76:77], v[2:3], s[12:13], v[76:77]
	v_add_f64 v[12:13], v[10:11], v[14:15]
	v_fma_f64 v[2:3], v[6:7], s[12:13], v[78:79]
	v_fma_f64 v[78:79], v[6:7], s[8:9], v[78:79]
	v_add_f64 v[6:7], v[4:5], v[8:9]
	s_waitcnt lgkmcnt(0)
	s_delay_alu instid0(VALU_DEP_4) | instskip(SKIP_2) | instid1(VALU_DEP_4)
	v_fma_f64 v[80:81], v[12:13], -0.5, v[74:75]
	v_add_f64 v[12:13], v[74:75], v[10:11]
	v_add_f64 v[74:75], v[10:11], -v[14:15]
	v_fma_f64 v[6:7], v[6:7], -0.5, v[72:73]
	v_add_f64 v[72:73], v[72:73], v[4:5]
	s_delay_alu instid0(VALU_DEP_4) | instskip(SKIP_1) | instid1(VALU_DEP_3)
	v_add_f64 v[12:13], v[12:13], v[14:15]
	v_add_f64 v[14:15], v[18:19], v[24:25]
	;; [unrolled: 1-line block ×3, first 2 shown]
	v_add_f64 v[8:9], v[4:5], -v[8:9]
	v_fma_f64 v[4:5], v[74:75], s[8:9], v[6:7]
	v_fma_f64 v[72:73], v[74:75], s[12:13], v[6:7]
	s_delay_alu instid0(VALU_DEP_3)
	v_fma_f64 v[6:7], v[8:9], s[12:13], v[80:81]
	v_fma_f64 v[74:75], v[8:9], s[8:9], v[80:81]
	v_add_f64 v[8:9], v[16:17], v[20:21]
	ds_load_b128 v[80:83], v170 offset:3168
	ds_load_b128 v[84:87], v170 offset:4752
	s_waitcnt lgkmcnt(1)
	v_fma_f64 v[90:91], v[14:15], -0.5, v[82:83]
	v_add_f64 v[14:15], v[82:83], v[18:19]
	v_add_f64 v[18:19], v[18:19], -v[24:25]
	v_fma_f64 v[8:9], v[8:9], -0.5, v[80:81]
	v_add_f64 v[80:81], v[80:81], v[16:17]
	s_delay_alu instid0(VALU_DEP_4) | instskip(SKIP_1) | instid1(VALU_DEP_4)
	v_add_f64 v[82:83], v[14:15], v[24:25]
	v_add_f64 v[24:25], v[28:29], v[30:31]
	v_fma_f64 v[14:15], v[18:19], s[8:9], v[8:9]
	v_fma_f64 v[18:19], v[18:19], s[12:13], v[8:9]
	v_add_f64 v[8:9], v[22:23], v[26:27]
	v_add_f64 v[80:81], v[80:81], v[20:21]
	v_add_f64 v[20:21], v[16:17], -v[20:21]
	s_waitcnt lgkmcnt(0)
	s_delay_alu instid0(VALU_DEP_3) | instskip(SKIP_1) | instid1(VALU_DEP_3)
	v_fma_f64 v[8:9], v[8:9], -0.5, v[84:85]
	v_add_f64 v[84:85], v[84:85], v[22:23]
	v_fma_f64 v[16:17], v[20:21], s[12:13], v[90:91]
	v_fma_f64 v[20:21], v[20:21], s[8:9], v[90:91]
	v_fma_f64 v[90:91], v[24:25], -0.5, v[86:87]
	v_add_f64 v[24:25], v[86:87], v[28:29]
	v_add_f64 v[86:87], v[28:29], -v[30:31]
	v_add_f64 v[28:29], v[84:85], v[26:27]
	v_add_f64 v[26:27], v[22:23], -v[26:27]
	s_delay_alu instid0(VALU_DEP_4) | instskip(NEXT) | instid1(VALU_DEP_4)
	v_add_f64 v[30:31], v[24:25], v[30:31]
	v_fma_f64 v[22:23], v[86:87], s[8:9], v[8:9]
	v_fma_f64 v[84:85], v[86:87], s[12:13], v[8:9]
	v_add_f64 v[8:9], v[32:33], v[36:37]
	v_fma_f64 v[24:25], v[26:27], s[12:13], v[90:91]
	v_fma_f64 v[86:87], v[26:27], s[8:9], v[90:91]
	v_add_f64 v[26:27], v[34:35], v[40:41]
	ds_load_b128 v[90:93], v170 offset:6336
	ds_load_b128 v[140:143], v170 offset:7920
	s_waitcnt lgkmcnt(0)
	s_waitcnt_vscnt null, 0x0
	s_barrier
	buffer_gl0_inv
	v_fma_f64 v[8:9], v[8:9], -0.5, v[90:91]
	v_add_f64 v[90:91], v[90:91], v[32:33]
	v_fma_f64 v[26:27], v[26:27], -0.5, v[92:93]
	v_add_f64 v[92:93], v[92:93], v[34:35]
	v_add_f64 v[34:35], v[34:35], -v[40:41]
	s_delay_alu instid0(VALU_DEP_4) | instskip(SKIP_1) | instid1(VALU_DEP_4)
	v_add_f64 v[90:91], v[90:91], v[36:37]
	v_add_f64 v[36:37], v[32:33], -v[36:37]
	v_add_f64 v[92:93], v[92:93], v[40:41]
	s_delay_alu instid0(VALU_DEP_4)
	v_fma_f64 v[32:33], v[34:35], s[8:9], v[8:9]
	v_fma_f64 v[160:161], v[34:35], s[12:13], v[8:9]
	v_add_f64 v[8:9], v[38:39], v[42:43]
	v_add_f64 v[40:41], v[140:141], v[38:39]
	v_fma_f64 v[34:35], v[36:37], s[12:13], v[26:27]
	v_fma_f64 v[162:163], v[36:37], s[8:9], v[26:27]
	v_add_f64 v[36:37], v[142:143], v[44:45]
	v_add_f64 v[26:27], v[44:45], v[46:47]
	v_fma_f64 v[8:9], v[8:9], -0.5, v[140:141]
	v_add_f64 v[44:45], v[40:41], v[42:43]
	v_add_f64 v[42:43], v[38:39], -v[42:43]
	v_add_f64 v[46:47], v[36:37], v[46:47]
	v_fma_f64 v[26:27], v[26:27], -0.5, v[142:143]
	v_fma_f64 v[36:37], v[94:95], s[8:9], v[8:9]
	v_fma_f64 v[40:41], v[94:95], s[12:13], v[8:9]
	v_and_b32_e32 v8, 0xffff, v56
	v_lshlrev_b32_e32 v56, 5, v216
	s_delay_alu instid0(VALU_DEP_2) | instskip(NEXT) | instid1(VALU_DEP_1)
	v_mul_u32_u24_e32 v8, 0x63, v8
	v_add_lshl_u32 v8, v8, v57, 4
	ds_store_b128 v8, v[68:71]
	ds_store_b128 v8, v[0:3] offset:528
	v_and_b32_e32 v0, 0xffff, v58
	scratch_store_b32 off, v8, off offset:776 ; 4-byte Folded Spill
	ds_store_b128 v8, v[76:79] offset:1056
	v_fma_f64 v[38:39], v[42:43], s[12:13], v[26:27]
	v_fma_f64 v[42:43], v[42:43], s[8:9], v[26:27]
	v_mul_u32_u24_e32 v0, 0x63, v0
	s_delay_alu instid0(VALU_DEP_1)
	v_add_lshl_u32 v0, v0, v59, 4
	ds_store_b128 v0, v[10:13]
	ds_store_b128 v0, v[4:7] offset:528
	scratch_store_b32 off, v0, off offset:772 ; 4-byte Folded Spill
	ds_store_b128 v0, v[72:75] offset:1056
	v_mad_u16 v0, 0x63, v60, v61
	s_delay_alu instid0(VALU_DEP_1) | instskip(NEXT) | instid1(VALU_DEP_1)
	v_and_b32_e32 v0, 0xffff, v0
	v_lshlrev_b32_e32 v0, 4, v0
	ds_store_b128 v0, v[80:83]
	ds_store_b128 v0, v[14:17] offset:528
	scratch_store_b32 off, v0, off offset:768 ; 4-byte Folded Spill
	ds_store_b128 v0, v[18:21] offset:1056
	v_mad_u16 v0, 0x63, v62, v63
	s_delay_alu instid0(VALU_DEP_1) | instskip(NEXT) | instid1(VALU_DEP_1)
	v_and_b32_e32 v0, 0xffff, v0
	v_lshlrev_b32_e32 v0, 4, v0
	;; [unrolled: 8-line block ×4, first 2 shown]
	ds_store_b128 v0, v[44:47]
	ds_store_b128 v0, v[36:39] offset:528
	scratch_store_b32 off, v0, off offset:756 ; 4-byte Folded Spill
	ds_store_b128 v0, v[40:43] offset:1056
	s_waitcnt lgkmcnt(0)
	s_waitcnt_vscnt null, 0x0
	s_barrier
	buffer_gl0_inv
	scratch_store_b32 off, v216, off offset:120 ; 4-byte Folded Spill
	s_clause 0x1
	global_load_b128 v[140:143], v56, s[2:3] offset:1408
	global_load_b128 v[160:163], v56, s[2:3] offset:1424
	ds_load_b128 v[2:5], v170 offset:9504
	ds_load_b128 v[8:11], v170 offset:11088
	s_waitcnt vmcnt(1) lgkmcnt(1)
	v_mul_f64 v[0:1], v[4:5], v[142:143]
	s_delay_alu instid0(VALU_DEP_1) | instskip(SKIP_1) | instid1(VALU_DEP_1)
	v_fma_f64 v[0:1], v[2:3], v[140:141], -v[0:1]
	v_mul_f64 v[2:3], v[2:3], v[142:143]
	v_fma_f64 v[6:7], v[4:5], v[140:141], v[2:3]
	ds_load_b128 v[2:5], v170 offset:19008
	ds_load_b128 v[18:21], v170 offset:20592
	s_waitcnt vmcnt(0) lgkmcnt(1)
	v_mul_f64 v[12:13], v[4:5], v[162:163]
	s_delay_alu instid0(VALU_DEP_1) | instskip(SKIP_2) | instid1(VALU_DEP_2)
	v_fma_f64 v[14:15], v[2:3], v[160:161], -v[12:13]
	v_mul_u32_u24_e32 v12, 0xa57f, v49
	v_mul_f64 v[2:3], v[2:3], v[162:163]
	v_lshrrev_b32_e32 v12, 22, v12
	s_delay_alu instid0(VALU_DEP_1) | instskip(NEXT) | instid1(VALU_DEP_1)
	v_mul_lo_u16 v12, 0x63, v12
	v_sub_nc_u16 v49, v48, v12
	s_delay_alu instid0(VALU_DEP_1) | instskip(NEXT) | instid1(VALU_DEP_1)
	v_lshlrev_b16 v12, 5, v49
	v_and_b32_e32 v12, 0xffff, v12
	s_delay_alu instid0(VALU_DEP_1) | instskip(NEXT) | instid1(VALU_DEP_1)
	v_add_co_u32 v12, s0, s2, v12
	v_add_co_ci_u32_e64 v13, null, s3, 0, s0
	s_clause 0x1
	global_load_b128 v[22:25], v[12:13], off offset:1408
	global_load_b128 v[34:37], v[12:13], off offset:1424
	v_fma_f64 v[16:17], v[4:5], v[160:161], v[2:3]
	v_mul_f64 v[2:3], v[10:11], v[142:143]
	v_mul_f64 v[4:5], v[8:9], v[142:143]
	s_delay_alu instid0(VALU_DEP_3) | instskip(NEXT) | instid1(VALU_DEP_3)
	v_add_f64 v[65:66], v[6:7], v[16:17]
	v_fma_f64 v[2:3], v[8:9], v[140:141], -v[2:3]
	s_delay_alu instid0(VALU_DEP_3) | instskip(SKIP_3) | instid1(VALU_DEP_2)
	v_fma_f64 v[8:9], v[10:11], v[140:141], v[4:5]
	s_waitcnt lgkmcnt(0)
	v_mul_f64 v[4:5], v[20:21], v[162:163]
	v_mul_f64 v[10:11], v[18:19], v[162:163]
	v_fma_f64 v[4:5], v[18:19], v[160:161], -v[4:5]
	s_delay_alu instid0(VALU_DEP_2)
	v_fma_f64 v[10:11], v[20:21], v[160:161], v[10:11]
	ds_load_b128 v[18:21], v170 offset:12672
	ds_load_b128 v[26:29], v170 offset:14256
	s_waitcnt vmcnt(1) lgkmcnt(1)
	v_mul_f64 v[12:13], v[20:21], v[24:25]
	scratch_store_b128 off, v[22:25], off offset:724 ; 16-byte Folded Spill
	v_fma_f64 v[12:13], v[18:19], v[22:23], -v[12:13]
	v_mul_f64 v[18:19], v[18:19], v[24:25]
	s_delay_alu instid0(VALU_DEP_1)
	v_fma_f64 v[18:19], v[20:21], v[22:23], v[18:19]
	ds_load_b128 v[22:25], v170 offset:22176
	ds_load_b128 v[30:33], v170 offset:23760
	s_waitcnt vmcnt(0)
	scratch_store_b128 off, v[34:37], off offset:708 ; 16-byte Folded Spill
	s_waitcnt lgkmcnt(1)
	v_mul_f64 v[20:21], v[24:25], v[36:37]
	s_delay_alu instid0(VALU_DEP_1) | instskip(SKIP_1) | instid1(VALU_DEP_1)
	v_fma_f64 v[20:21], v[22:23], v[34:35], -v[20:21]
	v_mul_f64 v[22:23], v[22:23], v[36:37]
	v_fma_f64 v[24:25], v[24:25], v[34:35], v[22:23]
	v_mul_u32_u24_e32 v22, 0xa57f, v51
	s_delay_alu instid0(VALU_DEP_1) | instskip(NEXT) | instid1(VALU_DEP_1)
	v_lshrrev_b32_e32 v22, 22, v22
	v_mul_lo_u16 v22, 0x63, v22
	s_delay_alu instid0(VALU_DEP_1) | instskip(NEXT) | instid1(VALU_DEP_1)
	v_sub_nc_u16 v50, v50, v22
	v_lshlrev_b16 v22, 5, v50
	s_delay_alu instid0(VALU_DEP_1) | instskip(NEXT) | instid1(VALU_DEP_1)
	v_and_b32_e32 v22, 0xffff, v22
	v_add_co_u32 v22, s0, s2, v22
	s_delay_alu instid0(VALU_DEP_1)
	v_add_co_ci_u32_e64 v23, null, s3, 0, s0
	s_clause 0x1
	global_load_b128 v[184:187], v[22:23], off offset:1408
	global_load_b128 v[176:179], v[22:23], off offset:1424
	s_waitcnt vmcnt(1)
	v_mul_f64 v[22:23], v[28:29], v[186:187]
	s_delay_alu instid0(VALU_DEP_1) | instskip(SKIP_1) | instid1(VALU_DEP_1)
	v_fma_f64 v[22:23], v[26:27], v[184:185], -v[22:23]
	v_mul_f64 v[26:27], v[26:27], v[186:187]
	v_fma_f64 v[28:29], v[28:29], v[184:185], v[26:27]
	s_waitcnt vmcnt(0) lgkmcnt(0)
	v_mul_f64 v[26:27], v[32:33], v[178:179]
	s_delay_alu instid0(VALU_DEP_1) | instskip(SKIP_1) | instid1(VALU_DEP_1)
	v_fma_f64 v[26:27], v[30:31], v[176:177], -v[26:27]
	v_mul_f64 v[30:31], v[30:31], v[178:179]
	v_fma_f64 v[30:31], v[32:33], v[176:177], v[30:31]
	v_mul_u32_u24_e32 v32, 0xa57f, v55
	s_delay_alu instid0(VALU_DEP_1) | instskip(NEXT) | instid1(VALU_DEP_1)
	v_lshrrev_b32_e32 v32, 22, v32
	v_mul_lo_u16 v32, 0x63, v32
	s_delay_alu instid0(VALU_DEP_1) | instskip(NEXT) | instid1(VALU_DEP_1)
	v_sub_nc_u16 v51, v54, v32
	v_lshlrev_b16 v32, 5, v51
	s_delay_alu instid0(VALU_DEP_1) | instskip(NEXT) | instid1(VALU_DEP_1)
	v_and_b32_e32 v32, 0xffff, v32
	v_add_co_u32 v32, s0, s2, v32
	s_delay_alu instid0(VALU_DEP_1)
	v_add_co_ci_u32_e64 v33, null, s3, 0, s0
	s_clause 0x1
	global_load_b128 v[180:183], v[32:33], off offset:1408
	global_load_b128 v[188:191], v[32:33], off offset:1424
	ds_load_b128 v[34:37], v170 offset:15840
	ds_load_b128 v[42:45], v170 offset:17424
	;; [unrolled: 1-line block ×4, first 2 shown]
	s_waitcnt vmcnt(1) lgkmcnt(3)
	v_mul_f64 v[32:33], v[36:37], v[182:183]
	s_delay_alu instid0(VALU_DEP_1) | instskip(SKIP_1) | instid1(VALU_DEP_1)
	v_fma_f64 v[32:33], v[34:35], v[180:181], -v[32:33]
	v_mul_f64 v[34:35], v[34:35], v[182:183]
	v_fma_f64 v[34:35], v[36:37], v[180:181], v[34:35]
	s_waitcnt vmcnt(0) lgkmcnt(1)
	v_mul_f64 v[36:37], v[40:41], v[190:191]
	s_delay_alu instid0(VALU_DEP_1) | instskip(SKIP_1) | instid1(VALU_DEP_1)
	v_fma_f64 v[36:37], v[38:39], v[188:189], -v[36:37]
	v_mul_f64 v[38:39], v[38:39], v[190:191]
	v_fma_f64 v[40:41], v[40:41], v[188:189], v[38:39]
	v_mul_u32_u24_e32 v38, 0xa57f, v53
	v_add_f64 v[53:54], v[0:1], v[14:15]
	s_delay_alu instid0(VALU_DEP_2) | instskip(NEXT) | instid1(VALU_DEP_1)
	v_lshrrev_b32_e32 v38, 22, v38
	v_mul_lo_u16 v38, 0x63, v38
	s_delay_alu instid0(VALU_DEP_1) | instskip(NEXT) | instid1(VALU_DEP_1)
	v_sub_nc_u16 v52, v52, v38
	v_lshlrev_b16 v38, 5, v52
	s_delay_alu instid0(VALU_DEP_1) | instskip(NEXT) | instid1(VALU_DEP_1)
	v_and_b32_e32 v38, 0xffff, v38
	v_add_co_u32 v38, s0, s2, v38
	s_delay_alu instid0(VALU_DEP_1)
	v_add_co_ci_u32_e64 v39, null, s3, 0, s0
	s_clause 0x1
	global_load_b128 v[220:223], v[38:39], off offset:1408
	global_load_b128 v[216:219], v[38:39], off offset:1424
	s_waitcnt vmcnt(1)
	v_mul_f64 v[38:39], v[44:45], v[222:223]
	s_waitcnt vmcnt(0) lgkmcnt(0)
	v_mul_f64 v[46:47], v[57:58], v[218:219]
	s_delay_alu instid0(VALU_DEP_2) | instskip(SKIP_1) | instid1(VALU_DEP_3)
	v_fma_f64 v[38:39], v[42:43], v[220:221], -v[38:39]
	v_mul_f64 v[42:43], v[42:43], v[222:223]
	v_fma_f64 v[46:47], v[59:60], v[216:217], v[46:47]
	s_delay_alu instid0(VALU_DEP_2) | instskip(SKIP_1) | instid1(VALU_DEP_1)
	v_fma_f64 v[42:43], v[44:45], v[220:221], v[42:43]
	v_mul_f64 v[44:45], v[59:60], v[218:219]
	v_fma_f64 v[44:45], v[57:58], v[216:217], -v[44:45]
	ds_load_b128 v[57:60], v170
	ds_load_b128 v[61:64], v170 offset:1584
	s_waitcnt lgkmcnt(1)
	v_fma_f64 v[53:54], v[53:54], -0.5, v[57:58]
	v_fma_f64 v[67:68], v[65:66], -0.5, v[59:60]
	v_add_f64 v[59:60], v[59:60], v[6:7]
	v_add_f64 v[57:58], v[57:58], v[0:1]
	v_add_f64 v[0:1], v[0:1], -v[14:15]
	v_add_f64 v[6:7], v[6:7], -v[16:17]
	s_delay_alu instid0(VALU_DEP_4) | instskip(NEXT) | instid1(VALU_DEP_4)
	v_add_f64 v[59:60], v[59:60], v[16:17]
	v_add_f64 v[57:58], v[57:58], v[14:15]
	s_delay_alu instid0(VALU_DEP_4)
	v_fma_f64 v[16:17], v[0:1], s[12:13], v[67:68]
	v_fma_f64 v[67:68], v[0:1], s[8:9], v[67:68]
	v_add_f64 v[0:1], v[2:3], v[4:5]
	v_fma_f64 v[14:15], v[6:7], s[8:9], v[53:54]
	v_fma_f64 v[65:66], v[6:7], s[12:13], v[53:54]
	s_waitcnt lgkmcnt(0)
	v_add_f64 v[6:7], v[61:62], v[2:3]
	s_delay_alu instid0(VALU_DEP_4) | instskip(SKIP_2) | instid1(VALU_DEP_4)
	v_fma_f64 v[53:54], v[0:1], -0.5, v[61:62]
	v_add_f64 v[0:1], v[8:9], v[10:11]
	v_add_f64 v[61:62], v[8:9], -v[10:11]
	v_add_f64 v[6:7], v[6:7], v[4:5]
	v_add_f64 v[4:5], v[2:3], -v[4:5]
	s_delay_alu instid0(VALU_DEP_4) | instskip(SKIP_1) | instid1(VALU_DEP_2)
	v_fma_f64 v[69:70], v[0:1], -0.5, v[63:64]
	v_add_f64 v[0:1], v[63:64], v[8:9]
	v_fma_f64 v[2:3], v[4:5], s[12:13], v[69:70]
	s_delay_alu instid0(VALU_DEP_2)
	v_add_f64 v[8:9], v[0:1], v[10:11]
	v_fma_f64 v[63:64], v[4:5], s[8:9], v[69:70]
	v_add_f64 v[4:5], v[12:13], v[20:21]
	v_add_f64 v[10:11], v[18:19], v[24:25]
	ds_load_b128 v[69:72], v170 offset:3168
	ds_load_b128 v[73:76], v170 offset:4752
	v_fma_f64 v[0:1], v[61:62], s[8:9], v[53:54]
	v_fma_f64 v[61:62], v[61:62], s[12:13], v[53:54]
	ds_load_b128 v[77:80], v170 offset:6336
	ds_load_b128 v[81:84], v170 offset:7920
	s_waitcnt lgkmcnt(0)
	s_waitcnt_vscnt null, 0x0
	s_barrier
	buffer_gl0_inv
	ds_store_b128 v170, v[57:60]
	ds_store_b128 v170, v[14:17] offset:1584
	ds_store_b128 v170, v[6:9] offset:4752
	;; [unrolled: 1-line block ×5, first 2 shown]
	v_fma_f64 v[4:5], v[4:5], -0.5, v[69:70]
	v_fma_f64 v[53:54], v[10:11], -0.5, v[71:72]
	v_add_f64 v[10:11], v[71:72], v[18:19]
	v_add_f64 v[69:70], v[69:70], v[12:13]
	v_add_f64 v[18:19], v[18:19], -v[24:25]
	v_and_b32_e32 v0, 0xffff, v49
	v_add_co_u32 v2, s0, s2, v56
	s_delay_alu instid0(VALU_DEP_1) | instskip(NEXT) | instid1(VALU_DEP_3)
	v_add_co_ci_u32_e64 v3, null, s3, 0, s0
	v_lshlrev_b32_e32 v1, 4, v0
	v_and_b32_e32 v0, 0xffff, v50
	s_delay_alu instid0(VALU_DEP_1)
	v_lshlrev_b32_e32 v0, 4, v0
	v_add_f64 v[71:72], v[10:11], v[24:25]
	v_add_f64 v[69:70], v[69:70], v[20:21]
	v_add_f64 v[20:21], v[12:13], -v[20:21]
	v_fma_f64 v[10:11], v[18:19], s[8:9], v[4:5]
	v_fma_f64 v[18:19], v[18:19], s[12:13], v[4:5]
	v_add_f64 v[4:5], v[22:23], v[26:27]
	v_add_f64 v[24:25], v[28:29], v[30:31]
	v_fma_f64 v[12:13], v[20:21], s[12:13], v[53:54]
	v_fma_f64 v[20:21], v[20:21], s[8:9], v[53:54]
	ds_store_b128 v1, v[69:72] offset:9504
	ds_store_b128 v1, v[10:13] offset:11088
	v_fma_f64 v[4:5], v[4:5], -0.5, v[73:74]
	v_fma_f64 v[53:54], v[24:25], -0.5, v[75:76]
	v_add_f64 v[24:25], v[75:76], v[28:29]
	v_add_f64 v[73:74], v[73:74], v[22:23]
	v_add_f64 v[75:76], v[28:29], -v[30:31]
	scratch_store_b32 off, v1, off offset:792 ; 4-byte Folded Spill
	v_add_f64 v[30:31], v[24:25], v[30:31]
	v_add_f64 v[28:29], v[73:74], v[26:27]
	v_add_f64 v[26:27], v[22:23], -v[26:27]
	v_fma_f64 v[22:23], v[75:76], s[8:9], v[4:5]
	v_fma_f64 v[73:74], v[75:76], s[12:13], v[4:5]
	v_add_f64 v[4:5], v[32:33], v[36:37]
	s_delay_alu instid0(VALU_DEP_4) | instskip(SKIP_2) | instid1(VALU_DEP_4)
	v_fma_f64 v[24:25], v[26:27], s[12:13], v[53:54]
	v_fma_f64 v[75:76], v[26:27], s[8:9], v[53:54]
	v_add_f64 v[26:27], v[34:35], v[40:41]
	v_fma_f64 v[4:5], v[4:5], -0.5, v[77:78]
	v_add_f64 v[77:78], v[77:78], v[32:33]
	v_add_f64 v[53:54], v[79:80], v[34:35]
	v_add_f64 v[34:35], v[34:35], -v[40:41]
	ds_store_b128 v1, v[18:21] offset:12672
	ds_store_b128 v0, v[28:31] offset:14256
	;; [unrolled: 1-line block ×3, first 2 shown]
	scratch_store_b32 off, v0, off offset:788 ; 4-byte Folded Spill
	ds_store_b128 v0, v[73:76] offset:17424
	v_fma_f64 v[26:27], v[26:27], -0.5, v[79:80]
	v_and_b32_e32 v0, 0xffff, v51
	v_add_f64 v[77:78], v[77:78], v[36:37]
	v_add_f64 v[36:37], v[32:33], -v[36:37]
	v_fma_f64 v[32:33], v[34:35], s[8:9], v[4:5]
	v_fma_f64 v[192:193], v[34:35], s[12:13], v[4:5]
	v_add_f64 v[4:5], v[38:39], v[44:45]
	v_add_f64 v[79:80], v[53:54], v[40:41]
	;; [unrolled: 1-line block ×3, first 2 shown]
	v_add_f64 v[53:54], v[42:43], -v[46:47]
	v_lshlrev_b32_e32 v1, 4, v0
	v_and_b32_e32 v0, 0xffff, v52
	s_delay_alu instid0(VALU_DEP_1)
	v_lshlrev_b32_e32 v0, 4, v0
	v_fma_f64 v[34:35], v[36:37], s[12:13], v[26:27]
	v_fma_f64 v[194:195], v[36:37], s[8:9], v[26:27]
	v_add_f64 v[26:27], v[42:43], v[46:47]
	v_add_f64 v[36:37], v[83:84], v[42:43]
	v_fma_f64 v[4:5], v[4:5], -0.5, v[81:82]
	v_add_f64 v[40:41], v[40:41], v[44:45]
	ds_store_b128 v1, v[77:80] offset:19008
	ds_store_b128 v1, v[32:35] offset:20592
	scratch_store_b32 off, v1, off offset:784 ; 4-byte Folded Spill
	v_fma_f64 v[26:27], v[26:27], -0.5, v[83:84]
	v_add_f64 v[42:43], v[36:37], v[46:47]
	v_add_f64 v[46:47], v[38:39], -v[44:45]
	v_fma_f64 v[44:45], v[53:54], s[12:13], v[4:5]
	v_fma_f64 v[36:37], v[53:54], s[8:9], v[4:5]
	s_delay_alu instid0(VALU_DEP_3)
	v_fma_f64 v[38:39], v[46:47], s[12:13], v[26:27]
	v_fma_f64 v[46:47], v[46:47], s[8:9], v[26:27]
	ds_store_b128 v1, v[192:195] offset:22176
	ds_store_b128 v0, v[40:43] offset:23760
	;; [unrolled: 1-line block ×3, first 2 shown]
	scratch_store_b32 off, v0, off offset:780 ; 4-byte Folded Spill
	ds_store_b128 v0, v[44:47] offset:26928
	v_add_co_u32 v0, s0, 0x1000, v2
	s_delay_alu instid0(VALU_DEP_1) | instskip(SKIP_1) | instid1(VALU_DEP_1)
	v_add_co_ci_u32_e64 v1, s0, 0, v3, s0
	v_add_co_u32 v2, s0, 0x11e0, v2
	v_add_co_ci_u32_e64 v3, s0, 0, v3, s0
	s_waitcnt lgkmcnt(0)
	s_waitcnt_vscnt null, 0x0
	s_barrier
	buffer_gl0_inv
	s_clause 0x1
	global_load_b128 v[200:203], v[0:1], off offset:480
	global_load_b128 v[196:199], v[2:3], off offset:16
	ds_load_b128 v[0:3], v170 offset:9504
	ds_load_b128 v[4:7], v170 offset:11088
	s_waitcnt vmcnt(1) lgkmcnt(1)
	v_mul_f64 v[8:9], v[2:3], v[202:203]
	s_delay_alu instid0(VALU_DEP_1) | instskip(SKIP_1) | instid1(VALU_DEP_1)
	v_fma_f64 v[12:13], v[0:1], v[200:201], -v[8:9]
	v_mul_f64 v[0:1], v[0:1], v[202:203]
	v_fma_f64 v[14:15], v[2:3], v[200:201], v[0:1]
	ds_load_b128 v[0:3], v170 offset:19008
	ds_load_b128 v[8:11], v170 offset:20592
	s_waitcnt vmcnt(0) lgkmcnt(1)
	v_mul_f64 v[16:17], v[2:3], v[198:199]
	s_delay_alu instid0(VALU_DEP_1) | instskip(SKIP_1) | instid1(VALU_DEP_1)
	v_fma_f64 v[16:17], v[0:1], v[196:197], -v[16:17]
	v_mul_f64 v[0:1], v[0:1], v[198:199]
	v_fma_f64 v[18:19], v[2:3], v[196:197], v[0:1]
	v_lshlrev_b32_e32 v0, 5, v172
	s_delay_alu instid0(VALU_DEP_1) | instskip(NEXT) | instid1(VALU_DEP_1)
	v_add_co_u32 v2, s0, s2, v0
	v_add_co_ci_u32_e64 v3, null, s3, 0, s0
	s_delay_alu instid0(VALU_DEP_2) | instskip(NEXT) | instid1(VALU_DEP_1)
	v_add_co_u32 v0, s0, 0x1000, v2
	v_add_co_ci_u32_e64 v1, s0, 0, v3, s0
	v_add_co_u32 v2, s0, 0x11e0, v2
	s_delay_alu instid0(VALU_DEP_1)
	v_add_co_ci_u32_e64 v3, s0, 0, v3, s0
	s_clause 0x1
	global_load_b128 v[212:215], v[0:1], off offset:480
	global_load_b128 v[204:207], v[2:3], off offset:16
	s_waitcnt vmcnt(1)
	v_mul_f64 v[0:1], v[6:7], v[214:215]
	s_delay_alu instid0(VALU_DEP_1) | instskip(SKIP_1) | instid1(VALU_DEP_1)
	v_fma_f64 v[20:21], v[4:5], v[212:213], -v[0:1]
	v_mul_f64 v[0:1], v[4:5], v[214:215]
	v_fma_f64 v[22:23], v[6:7], v[212:213], v[0:1]
	s_waitcnt vmcnt(0) lgkmcnt(0)
	v_mul_f64 v[0:1], v[10:11], v[206:207]
	s_delay_alu instid0(VALU_DEP_1) | instskip(SKIP_1) | instid1(VALU_DEP_1)
	v_fma_f64 v[24:25], v[8:9], v[204:205], -v[0:1]
	v_mul_f64 v[0:1], v[8:9], v[206:207]
	v_fma_f64 v[26:27], v[10:11], v[204:205], v[0:1]
	v_lshlrev_b32_e32 v0, 5, v48
	s_delay_alu instid0(VALU_DEP_1) | instskip(NEXT) | instid1(VALU_DEP_1)
	v_add_co_u32 v2, s0, s2, v0
	v_add_co_ci_u32_e64 v3, null, s3, 0, s0
	s_delay_alu instid0(VALU_DEP_2) | instskip(NEXT) | instid1(VALU_DEP_1)
	v_add_co_u32 v0, s0, 0x1000, v2
	v_add_co_ci_u32_e64 v1, s0, 0, v3, s0
	v_add_co_u32 v2, s0, 0x11e0, v2
	s_delay_alu instid0(VALU_DEP_1)
	v_add_co_ci_u32_e64 v3, s0, 0, v3, s0
	s_clause 0x1
	global_load_b128 v[224:227], v[0:1], off offset:480
	global_load_b128 v[208:211], v[2:3], off offset:16
	ds_load_b128 v[0:3], v170 offset:12672
	ds_load_b128 v[4:7], v170 offset:14256
	s_waitcnt vmcnt(1) lgkmcnt(1)
	v_mul_f64 v[8:9], v[2:3], v[226:227]
	s_delay_alu instid0(VALU_DEP_1) | instskip(SKIP_1) | instid1(VALU_DEP_1)
	v_fma_f64 v[32:33], v[0:1], v[224:225], -v[8:9]
	v_mul_f64 v[0:1], v[0:1], v[226:227]
	v_fma_f64 v[34:35], v[2:3], v[224:225], v[0:1]
	ds_load_b128 v[0:3], v170 offset:22176
	ds_load_b128 v[8:11], v170 offset:23760
	s_waitcnt vmcnt(0) lgkmcnt(1)
	v_mul_f64 v[28:29], v[2:3], v[210:211]
	s_delay_alu instid0(VALU_DEP_1) | instskip(SKIP_1) | instid1(VALU_DEP_2)
	v_fma_f64 v[36:37], v[0:1], v[208:209], -v[28:29]
	v_mul_f64 v[0:1], v[0:1], v[210:211]
	v_add_f64 v[48:49], v[32:33], v[36:37]
	s_delay_alu instid0(VALU_DEP_2) | instskip(SKIP_1) | instid1(VALU_DEP_2)
	v_fma_f64 v[38:39], v[2:3], v[208:209], v[0:1]
	v_mul_f64 v[0:1], v[6:7], v[202:203]
	v_add_f64 v[50:51], v[34:35], v[38:39]
	s_delay_alu instid0(VALU_DEP_2) | instskip(SKIP_1) | instid1(VALU_DEP_1)
	v_fma_f64 v[40:41], v[4:5], v[200:201], -v[0:1]
	v_mul_f64 v[0:1], v[4:5], v[202:203]
	v_fma_f64 v[42:43], v[6:7], v[200:201], v[0:1]
	s_waitcnt lgkmcnt(0)
	v_mul_f64 v[0:1], v[10:11], v[198:199]
	s_delay_alu instid0(VALU_DEP_1) | instskip(SKIP_1) | instid1(VALU_DEP_1)
	v_fma_f64 v[44:45], v[8:9], v[196:197], -v[0:1]
	v_mul_f64 v[0:1], v[8:9], v[198:199]
	v_fma_f64 v[46:47], v[10:11], v[196:197], v[0:1]
	ds_load_b128 v[0:3], v170 offset:15840
	ds_load_b128 v[4:7], v170 offset:17424
	s_waitcnt lgkmcnt(1)
	v_mul_f64 v[8:9], v[2:3], v[214:215]
	s_delay_alu instid0(VALU_DEP_1) | instskip(SKIP_1) | instid1(VALU_DEP_1)
	v_fma_f64 v[56:57], v[0:1], v[212:213], -v[8:9]
	v_mul_f64 v[0:1], v[0:1], v[214:215]
	v_fma_f64 v[58:59], v[2:3], v[212:213], v[0:1]
	ds_load_b128 v[0:3], v170 offset:25344
	ds_load_b128 v[8:11], v170 offset:26928
	s_waitcnt lgkmcnt(1)
	v_mul_f64 v[28:29], v[2:3], v[206:207]
	s_delay_alu instid0(VALU_DEP_1) | instskip(SKIP_1) | instid1(VALU_DEP_2)
	v_fma_f64 v[60:61], v[0:1], v[204:205], -v[28:29]
	v_mul_f64 v[0:1], v[0:1], v[206:207]
	v_add_f64 v[72:73], v[56:57], v[60:61]
	s_delay_alu instid0(VALU_DEP_2) | instskip(SKIP_1) | instid1(VALU_DEP_2)
	v_fma_f64 v[62:63], v[2:3], v[204:205], v[0:1]
	v_mul_f64 v[0:1], v[6:7], v[226:227]
	v_add_f64 v[74:75], v[58:59], v[62:63]
	s_delay_alu instid0(VALU_DEP_2) | instskip(SKIP_1) | instid1(VALU_DEP_1)
	v_fma_f64 v[64:65], v[4:5], v[224:225], -v[0:1]
	v_mul_f64 v[0:1], v[4:5], v[226:227]
	v_fma_f64 v[66:67], v[6:7], v[224:225], v[0:1]
	s_waitcnt lgkmcnt(0)
	v_mul_f64 v[0:1], v[10:11], v[210:211]
	s_delay_alu instid0(VALU_DEP_1) | instskip(SKIP_2) | instid1(VALU_DEP_2)
	v_fma_f64 v[68:69], v[8:9], v[208:209], -v[0:1]
	v_mul_f64 v[0:1], v[8:9], v[210:211]
	v_add_f64 v[8:9], v[12:13], v[16:17]
	v_fma_f64 v[70:71], v[10:11], v[208:209], v[0:1]
	ds_load_b128 v[0:3], v170
	ds_load_b128 v[4:7], v170 offset:1584
	s_waitcnt lgkmcnt(1)
	v_fma_f64 v[10:11], v[8:9], -0.5, v[0:1]
	v_add_f64 v[8:9], v[14:15], v[18:19]
	v_add_f64 v[0:1], v[0:1], v[12:13]
	v_add_f64 v[76:77], v[66:67], -v[70:71]
	s_delay_alu instid0(VALU_DEP_3) | instskip(SKIP_4) | instid1(VALU_DEP_4)
	v_fma_f64 v[28:29], v[8:9], -0.5, v[2:3]
	v_add_f64 v[2:3], v[2:3], v[14:15]
	v_add_f64 v[14:15], v[14:15], -v[18:19]
	v_add_f64 v[0:1], v[0:1], v[16:17]
	v_add_f64 v[16:17], v[12:13], -v[16:17]
	v_add_f64 v[2:3], v[2:3], v[18:19]
	s_delay_alu instid0(VALU_DEP_4) | instskip(SKIP_1) | instid1(VALU_DEP_4)
	v_fma_f64 v[8:9], v[14:15], s[8:9], v[10:11]
	v_fma_f64 v[12:13], v[14:15], s[12:13], v[10:11]
	;; [unrolled: 1-line block ×4, first 2 shown]
	v_add_f64 v[16:17], v[20:21], v[24:25]
	s_waitcnt lgkmcnt(0)
	s_delay_alu instid0(VALU_DEP_1) | instskip(SKIP_2) | instid1(VALU_DEP_2)
	v_fma_f64 v[18:19], v[16:17], -0.5, v[4:5]
	v_add_f64 v[16:17], v[22:23], v[26:27]
	v_add_f64 v[4:5], v[4:5], v[20:21]
	v_fma_f64 v[28:29], v[16:17], -0.5, v[6:7]
	v_add_f64 v[6:7], v[6:7], v[22:23]
	v_add_f64 v[22:23], v[22:23], -v[26:27]
	s_delay_alu instid0(VALU_DEP_4) | instskip(SKIP_1) | instid1(VALU_DEP_4)
	v_add_f64 v[4:5], v[4:5], v[24:25]
	v_add_f64 v[24:25], v[20:21], -v[24:25]
	v_add_f64 v[6:7], v[6:7], v[26:27]
	s_delay_alu instid0(VALU_DEP_4) | instskip(SKIP_1) | instid1(VALU_DEP_4)
	v_fma_f64 v[16:17], v[22:23], s[8:9], v[18:19]
	v_fma_f64 v[20:21], v[22:23], s[12:13], v[18:19]
	;; [unrolled: 1-line block ×4, first 2 shown]
	ds_load_b128 v[24:27], v170 offset:3168
	ds_load_b128 v[28:31], v170 offset:4752
	s_waitcnt lgkmcnt(1)
	v_fma_f64 v[50:51], v[50:51], -0.5, v[26:27]
	v_add_f64 v[26:27], v[26:27], v[34:35]
	v_fma_f64 v[48:49], v[48:49], -0.5, v[24:25]
	v_add_f64 v[24:25], v[24:25], v[32:33]
	v_add_f64 v[34:35], v[34:35], -v[38:39]
	s_delay_alu instid0(VALU_DEP_4) | instskip(SKIP_1) | instid1(VALU_DEP_4)
	v_add_f64 v[26:27], v[26:27], v[38:39]
	v_add_f64 v[38:39], v[32:33], -v[36:37]
	v_add_f64 v[24:25], v[24:25], v[36:37]
	s_delay_alu instid0(VALU_DEP_4)
	v_fma_f64 v[32:33], v[34:35], s[8:9], v[48:49]
	v_fma_f64 v[36:37], v[34:35], s[12:13], v[48:49]
	v_add_f64 v[48:49], v[40:41], v[44:45]
	v_fma_f64 v[34:35], v[38:39], s[12:13], v[50:51]
	v_fma_f64 v[38:39], v[38:39], s[8:9], v[50:51]
	v_add_f64 v[50:51], v[42:43], v[46:47]
	s_waitcnt lgkmcnt(0)
	s_delay_alu instid0(VALU_DEP_4) | instskip(SKIP_1) | instid1(VALU_DEP_3)
	v_fma_f64 v[48:49], v[48:49], -0.5, v[28:29]
	v_add_f64 v[28:29], v[28:29], v[40:41]
	v_fma_f64 v[50:51], v[50:51], -0.5, v[30:31]
	v_add_f64 v[30:31], v[30:31], v[42:43]
	v_add_f64 v[42:43], v[42:43], -v[46:47]
	s_delay_alu instid0(VALU_DEP_4) | instskip(NEXT) | instid1(VALU_DEP_3)
	v_add_f64 v[28:29], v[28:29], v[44:45]
	v_add_f64 v[30:31], v[30:31], v[46:47]
	v_add_f64 v[46:47], v[40:41], -v[44:45]
	s_delay_alu instid0(VALU_DEP_4) | instskip(SKIP_1) | instid1(VALU_DEP_3)
	v_fma_f64 v[40:41], v[42:43], s[8:9], v[48:49]
	v_fma_f64 v[44:45], v[42:43], s[12:13], v[48:49]
	;; [unrolled: 1-line block ×4, first 2 shown]
	ds_load_b128 v[48:51], v170 offset:6336
	ds_load_b128 v[52:55], v170 offset:7920
	s_waitcnt lgkmcnt(0)
	s_barrier
	buffer_gl0_inv
	v_fma_f64 v[74:75], v[74:75], -0.5, v[50:51]
	v_add_f64 v[50:51], v[50:51], v[58:59]
	v_fma_f64 v[72:73], v[72:73], -0.5, v[48:49]
	v_add_f64 v[48:49], v[48:49], v[56:57]
	v_add_f64 v[58:59], v[58:59], -v[62:63]
	s_delay_alu instid0(VALU_DEP_4) | instskip(SKIP_1) | instid1(VALU_DEP_4)
	v_add_f64 v[50:51], v[50:51], v[62:63]
	v_add_f64 v[62:63], v[56:57], -v[60:61]
	v_add_f64 v[48:49], v[48:49], v[60:61]
	s_delay_alu instid0(VALU_DEP_4)
	v_fma_f64 v[56:57], v[58:59], s[8:9], v[72:73]
	v_fma_f64 v[60:61], v[58:59], s[12:13], v[72:73]
	v_add_f64 v[72:73], v[64:65], v[68:69]
	v_fma_f64 v[58:59], v[62:63], s[12:13], v[74:75]
	v_fma_f64 v[62:63], v[62:63], s[8:9], v[74:75]
	v_add_f64 v[74:75], v[66:67], v[70:71]
	s_delay_alu instid0(VALU_DEP_4) | instskip(SKIP_1) | instid1(VALU_DEP_3)
	v_fma_f64 v[72:73], v[72:73], -0.5, v[52:53]
	v_add_f64 v[52:53], v[52:53], v[64:65]
	v_fma_f64 v[74:75], v[74:75], -0.5, v[54:55]
	v_add_f64 v[54:55], v[54:55], v[66:67]
	s_delay_alu instid0(VALU_DEP_3) | instskip(NEXT) | instid1(VALU_DEP_2)
	v_add_f64 v[52:53], v[52:53], v[68:69]
	v_add_f64 v[54:55], v[54:55], v[70:71]
	v_add_f64 v[70:71], v[64:65], -v[68:69]
	v_fma_f64 v[64:65], v[76:77], s[8:9], v[72:73]
	v_fma_f64 v[68:69], v[76:77], s[12:13], v[72:73]
	s_delay_alu instid0(VALU_DEP_3)
	v_fma_f64 v[66:67], v[70:71], s[12:13], v[74:75]
	v_fma_f64 v[70:71], v[70:71], s[8:9], v[74:75]
	ds_store_b128 v170, v[0:3]
	ds_store_b128 v170, v[4:7] offset:1584
	ds_store_b128 v170, v[48:51] offset:15840
	ds_store_b128 v170, v[52:55] offset:17424
	ds_store_b128 v170, v[12:15] offset:9504
	ds_store_b128 v170, v[20:23] offset:11088
	ds_store_b128 v170, v[24:27] offset:3168
	ds_store_b128 v170, v[8:11] offset:4752
	ds_store_b128 v170, v[16:19] offset:6336
	ds_store_b128 v170, v[32:35] offset:7920
	ds_store_b128 v170, v[28:31] offset:14256
	ds_store_b128 v170, v[36:39] offset:12672
	ds_store_b128 v170, v[40:43] offset:19008
	ds_store_b128 v170, v[56:59] offset:20592
	ds_store_b128 v170, v[44:47] offset:23760
	ds_store_b128 v170, v[64:67] offset:22176
	ds_store_b128 v170, v[60:63] offset:25344
	ds_store_b128 v170, v[68:71] offset:26928
	v_add_co_u32 v32, s0, s2, v170
	s_delay_alu instid0(VALU_DEP_1) | instskip(SKIP_1) | instid1(VALU_DEP_2)
	v_add_co_ci_u32_e64 v33, null, s3, 0, s0
	s_waitcnt lgkmcnt(0)
	v_add_co_u32 v0, s0, 0x3000, v32
	s_delay_alu instid0(VALU_DEP_1)
	v_add_co_ci_u32_e64 v1, s0, 0, v33, s0
	s_barrier
	buffer_gl0_inv
	s_clause 0x1
	global_load_b128 v[10:13], v[0:1], off offset:1792
	global_load_b128 v[192:195], v[0:1], off offset:3376
	ds_load_b128 v[0:3], v170 offset:14256
	ds_load_b128 v[20:23], v170 offset:12672
	v_add_co_u32 v16, s0, 0x4000, v32
	s_delay_alu instid0(VALU_DEP_1) | instskip(SKIP_1) | instid1(VALU_DEP_1)
	v_add_co_ci_u32_e64 v17, s0, 0, v33, s0
	v_add_co_u32 v28, s0, 0x5000, v32
	v_add_co_ci_u32_e64 v29, s0, 0, v33, s0
	s_waitcnt vmcnt(1) lgkmcnt(1)
	v_mul_f64 v[4:5], v[2:3], v[12:13]
	scratch_store_b128 off, v[10:13], off offset:740 ; 16-byte Folded Spill
	v_fma_f64 v[8:9], v[0:1], v[10:11], -v[4:5]
	v_mul_f64 v[0:1], v[0:1], v[12:13]
	s_delay_alu instid0(VALU_DEP_1)
	v_fma_f64 v[10:11], v[2:3], v[10:11], v[0:1]
	ds_load_b128 v[0:3], v170 offset:15840
	ds_load_b128 v[4:7], v170 offset:17424
	s_clause 0x1
	global_load_b128 v[236:239], v[16:17], off offset:864
	global_load_b128 v[228:231], v[16:17], off offset:2448
	s_waitcnt vmcnt(2) lgkmcnt(1)
	v_mul_f64 v[12:13], v[2:3], v[194:195]
	s_delay_alu instid0(VALU_DEP_1) | instskip(SKIP_1) | instid1(VALU_DEP_1)
	v_fma_f64 v[12:13], v[0:1], v[192:193], -v[12:13]
	v_mul_f64 v[0:1], v[0:1], v[194:195]
	v_fma_f64 v[14:15], v[2:3], v[192:193], v[0:1]
	s_waitcnt vmcnt(1) lgkmcnt(0)
	v_mul_f64 v[0:1], v[6:7], v[238:239]
	s_delay_alu instid0(VALU_DEP_1) | instskip(SKIP_1) | instid1(VALU_DEP_1)
	v_fma_f64 v[18:19], v[4:5], v[236:237], -v[0:1]
	v_mul_f64 v[0:1], v[4:5], v[238:239]
	v_fma_f64 v[24:25], v[6:7], v[236:237], v[0:1]
	ds_load_b128 v[0:3], v170 offset:19008
	ds_load_b128 v[4:7], v170 offset:20592
	s_clause 0x1
	global_load_b128 v[244:247], v[16:17], off offset:4032
	global_load_b128 v[232:235], v[28:29], off offset:1520
	s_waitcnt vmcnt(2) lgkmcnt(1)
	v_mul_f64 v[26:27], v[2:3], v[230:231]
	s_delay_alu instid0(VALU_DEP_1) | instskip(SKIP_1) | instid1(VALU_DEP_1)
	v_fma_f64 v[26:27], v[0:1], v[228:229], -v[26:27]
	v_mul_f64 v[0:1], v[0:1], v[230:231]
	v_fma_f64 v[54:55], v[2:3], v[228:229], v[0:1]
	s_waitcnt vmcnt(1) lgkmcnt(0)
	v_mul_f64 v[0:1], v[6:7], v[246:247]
	s_delay_alu instid0(VALU_DEP_1) | instskip(SKIP_1) | instid1(VALU_DEP_1)
	v_fma_f64 v[16:17], v[4:5], v[244:245], -v[0:1]
	v_mul_f64 v[0:1], v[4:5], v[246:247]
	v_fma_f64 v[62:63], v[6:7], v[244:245], v[0:1]
	ds_load_b128 v[0:3], v170 offset:22176
	ds_load_b128 v[4:7], v170 offset:23760
	s_waitcnt vmcnt(0) lgkmcnt(1)
	v_mul_f64 v[30:31], v[2:3], v[234:235]
	s_delay_alu instid0(VALU_DEP_1) | instskip(SKIP_1) | instid1(VALU_DEP_1)
	v_fma_f64 v[68:69], v[0:1], v[232:233], -v[30:31]
	v_add_co_u32 v30, s0, 0x6000, v32
	v_add_co_ci_u32_e64 v31, s0, 0, v33, s0
	s_clause 0x1
	global_load_b128 v[248:251], v[28:29], off offset:3104
	global_load_b128 v[240:243], v[30:31], off offset:592
	v_mul_f64 v[0:1], v[0:1], v[234:235]
	s_delay_alu instid0(VALU_DEP_1) | instskip(SKIP_2) | instid1(VALU_DEP_1)
	v_fma_f64 v[70:71], v[2:3], v[232:233], v[0:1]
	s_waitcnt vmcnt(1) lgkmcnt(0)
	v_mul_f64 v[0:1], v[6:7], v[250:251]
	v_fma_f64 v[72:73], v[4:5], v[248:249], -v[0:1]
	v_mul_f64 v[0:1], v[4:5], v[250:251]
	s_delay_alu instid0(VALU_DEP_1)
	v_fma_f64 v[74:75], v[6:7], v[248:249], v[0:1]
	ds_load_b128 v[0:3], v170 offset:25344
	ds_load_b128 v[4:7], v170 offset:26928
	global_load_b128 v[252:255], v[30:31], off offset:2176
	s_waitcnt vmcnt(1) lgkmcnt(1)
	v_mul_f64 v[28:29], v[2:3], v[242:243]
	s_delay_alu instid0(VALU_DEP_1) | instskip(SKIP_1) | instid1(VALU_DEP_1)
	v_fma_f64 v[76:77], v[0:1], v[240:241], -v[28:29]
	v_mul_f64 v[0:1], v[0:1], v[242:243]
	v_fma_f64 v[78:79], v[2:3], v[240:241], v[0:1]
	s_waitcnt vmcnt(0) lgkmcnt(0)
	v_mul_f64 v[0:1], v[6:7], v[254:255]
	s_delay_alu instid0(VALU_DEP_1) | instskip(SKIP_1) | instid1(VALU_DEP_1)
	v_fma_f64 v[80:81], v[4:5], v[252:253], -v[0:1]
	v_mul_f64 v[0:1], v[4:5], v[254:255]
	v_fma_f64 v[82:83], v[6:7], v[252:253], v[0:1]
	ds_load_b128 v[0:3], v170
	ds_load_b128 v[4:7], v170 offset:1584
	s_waitcnt lgkmcnt(1)
	v_add_f64 v[28:29], v[0:1], -v[8:9]
	v_add_f64 v[30:31], v[2:3], -v[10:11]
	s_waitcnt lgkmcnt(0)
	v_add_f64 v[36:37], v[4:5], -v[12:13]
	v_add_f64 v[38:39], v[6:7], -v[14:15]
	s_delay_alu instid0(VALU_DEP_4) | instskip(NEXT) | instid1(VALU_DEP_4)
	v_fma_f64 v[32:33], v[0:1], 2.0, -v[28:29]
	v_fma_f64 v[34:35], v[2:3], 2.0, -v[30:31]
	s_delay_alu instid0(VALU_DEP_4) | instskip(NEXT) | instid1(VALU_DEP_4)
	v_fma_f64 v[40:41], v[4:5], 2.0, -v[36:37]
	v_fma_f64 v[42:43], v[6:7], 2.0, -v[38:39]
	ds_load_b128 v[0:3], v170 offset:3168
	ds_load_b128 v[4:7], v170 offset:4752
	s_waitcnt lgkmcnt(1)
	v_add_f64 v[44:45], v[0:1], -v[18:19]
	v_add_f64 v[46:47], v[2:3], -v[24:25]
	s_waitcnt lgkmcnt(0)
	v_add_f64 v[52:53], v[4:5], -v[26:27]
	v_add_f64 v[54:55], v[6:7], -v[54:55]
	s_delay_alu instid0(VALU_DEP_4) | instskip(NEXT) | instid1(VALU_DEP_4)
	v_fma_f64 v[48:49], v[0:1], 2.0, -v[44:45]
	v_fma_f64 v[50:51], v[2:3], 2.0, -v[46:47]
	ds_load_b128 v[0:3], v170 offset:6336
	ds_load_b128 v[8:11], v170 offset:7920
	v_fma_f64 v[56:57], v[4:5], 2.0, -v[52:53]
	v_fma_f64 v[58:59], v[6:7], 2.0, -v[54:55]
	s_waitcnt lgkmcnt(1)
	v_add_f64 v[60:61], v[0:1], -v[16:17]
	s_waitcnt lgkmcnt(0)
	v_add_f64 v[4:5], v[8:9], -v[68:69]
	v_add_f64 v[6:7], v[10:11], -v[70:71]
	;; [unrolled: 1-line block ×3, first 2 shown]
	s_delay_alu instid0(VALU_DEP_4) | instskip(NEXT) | instid1(VALU_DEP_4)
	v_fma_f64 v[64:65], v[0:1], 2.0, -v[60:61]
	v_fma_f64 v[68:69], v[8:9], 2.0, -v[4:5]
	s_delay_alu instid0(VALU_DEP_4)
	v_fma_f64 v[70:71], v[10:11], 2.0, -v[6:7]
	ds_load_b128 v[8:11], v170 offset:9504
	ds_load_b128 v[24:27], v170 offset:11088
	v_fma_f64 v[66:67], v[2:3], 2.0, -v[62:63]
	s_waitcnt lgkmcnt(1)
	v_add_f64 v[0:1], v[8:9], -v[72:73]
	v_add_f64 v[2:3], v[10:11], -v[74:75]
	s_waitcnt lgkmcnt(0)
	v_add_f64 v[16:17], v[24:25], -v[76:77]
	v_add_f64 v[18:19], v[26:27], -v[78:79]
	s_delay_alu instid0(VALU_DEP_4) | instskip(NEXT) | instid1(VALU_DEP_4)
	v_fma_f64 v[12:13], v[8:9], 2.0, -v[0:1]
	v_fma_f64 v[14:15], v[10:11], 2.0, -v[2:3]
	s_delay_alu instid0(VALU_DEP_4) | instskip(NEXT) | instid1(VALU_DEP_4)
	v_fma_f64 v[8:9], v[24:25], 2.0, -v[16:17]
	v_fma_f64 v[10:11], v[26:27], 2.0, -v[18:19]
	v_add_f64 v[24:25], v[20:21], -v[80:81]
	v_add_f64 v[26:27], v[22:23], -v[82:83]
	s_delay_alu instid0(VALU_DEP_2) | instskip(NEXT) | instid1(VALU_DEP_2)
	v_fma_f64 v[20:21], v[20:21], 2.0, -v[24:25]
	v_fma_f64 v[22:23], v[22:23], 2.0, -v[26:27]
	ds_store_b128 v170, v[36:39] offset:15840
	ds_store_b128 v170, v[44:47] offset:17424
	;; [unrolled: 1-line block ×5, first 2 shown]
	ds_store_b128 v170, v[32:35]
	ds_store_b128 v170, v[40:43] offset:1584
	ds_store_b128 v170, v[48:51] offset:3168
	;; [unrolled: 1-line block ×12, first 2 shown]
	s_waitcnt lgkmcnt(0)
	s_waitcnt_vscnt null, 0x0
	s_barrier
	buffer_gl0_inv
	scratch_load_b64 v[28:29], off, off     ; 8-byte Folded Reload
	s_waitcnt vmcnt(0)
	global_load_b128 v[28:31], v[28:29], off offset:3936
	ds_load_b128 v[32:35], v170
	ds_load_b128 v[36:39], v170 offset:2592
	s_waitcnt vmcnt(0) lgkmcnt(1)
	v_mul_f64 v[40:41], v[34:35], v[30:31]
	v_mul_f64 v[42:43], v[32:33], v[30:31]
	s_delay_alu instid0(VALU_DEP_2) | instskip(NEXT) | instid1(VALU_DEP_2)
	v_fma_f64 v[30:31], v[32:33], v[28:29], -v[40:41]
	v_fma_f64 v[32:33], v[34:35], v[28:29], v[42:43]
	v_add_co_u32 v28, s0, 0x6f60, v88
	s_delay_alu instid0(VALU_DEP_1) | instskip(SKIP_1) | instid1(VALU_DEP_1)
	v_add_co_ci_u32_e64 v29, s0, 0, v89, s0
	v_add_co_u32 v52, s0, 0x8000, v88
	v_add_co_ci_u32_e64 v53, s0, 0, v89, s0
	s_clause 0x1
	global_load_b128 v[40:43], v[28:29], off offset:2592
	global_load_b128 v[44:47], v[52:53], off offset:928
	s_waitcnt vmcnt(1) lgkmcnt(0)
	v_mul_f64 v[34:35], v[38:39], v[42:43]
	v_mul_f64 v[42:43], v[36:37], v[42:43]
	s_delay_alu instid0(VALU_DEP_2) | instskip(NEXT) | instid1(VALU_DEP_2)
	v_fma_f64 v[34:35], v[36:37], v[40:41], -v[34:35]
	v_fma_f64 v[36:37], v[38:39], v[40:41], v[42:43]
	ds_load_b128 v[38:41], v170 offset:5184
	ds_load_b128 v[48:51], v170 offset:7776
	s_waitcnt vmcnt(0) lgkmcnt(1)
	v_mul_f64 v[42:43], v[40:41], v[46:47]
	v_mul_f64 v[46:47], v[38:39], v[46:47]
	s_delay_alu instid0(VALU_DEP_2) | instskip(NEXT) | instid1(VALU_DEP_2)
	v_fma_f64 v[38:39], v[38:39], v[44:45], -v[42:43]
	v_fma_f64 v[40:41], v[40:41], v[44:45], v[46:47]
	v_add_co_u32 v46, s0, 0x9000, v88
	s_delay_alu instid0(VALU_DEP_1)
	v_add_co_ci_u32_e64 v47, s0, 0, v89, s0
	s_clause 0x1
	global_load_b128 v[42:45], v[52:53], off offset:3520
	global_load_b128 v[52:55], v[46:47], off offset:2016
	s_waitcnt vmcnt(1) lgkmcnt(0)
	v_mul_f64 v[46:47], v[50:51], v[44:45]
	v_mul_f64 v[56:57], v[48:49], v[44:45]
	s_delay_alu instid0(VALU_DEP_2) | instskip(NEXT) | instid1(VALU_DEP_2)
	v_fma_f64 v[44:45], v[48:49], v[42:43], -v[46:47]
	v_fma_f64 v[46:47], v[50:51], v[42:43], v[56:57]
	ds_load_b128 v[48:51], v170 offset:10368
	ds_load_b128 v[56:59], v170 offset:12960
	s_waitcnt vmcnt(0) lgkmcnt(1)
	v_mul_f64 v[42:43], v[50:51], v[54:55]
	v_mul_f64 v[54:55], v[48:49], v[54:55]
	s_delay_alu instid0(VALU_DEP_2) | instskip(SKIP_1) | instid1(VALU_DEP_1)
	v_fma_f64 v[48:49], v[48:49], v[52:53], -v[42:43]
	v_add_co_u32 v42, s0, 0xa000, v88
	v_add_co_ci_u32_e64 v43, s0, 0, v89, s0
	s_delay_alu instid0(VALU_DEP_4)
	v_fma_f64 v[50:51], v[50:51], v[52:53], v[54:55]
	s_clause 0x1
	global_load_b128 v[52:55], v[42:43], off offset:512
	global_load_b128 v[60:63], v[42:43], off offset:3104
	s_waitcnt vmcnt(1) lgkmcnt(0)
	v_mul_f64 v[42:43], v[58:59], v[54:55]
	v_mul_f64 v[64:65], v[56:57], v[54:55]
	s_delay_alu instid0(VALU_DEP_2) | instskip(NEXT) | instid1(VALU_DEP_2)
	v_fma_f64 v[54:55], v[56:57], v[52:53], -v[42:43]
	v_fma_f64 v[56:57], v[58:59], v[52:53], v[64:65]
	ds_load_b128 v[64:67], v170 offset:15552
	ds_load_b128 v[68:71], v170 offset:18144
	s_waitcnt vmcnt(0) lgkmcnt(1)
	v_mul_f64 v[42:43], v[66:67], v[62:63]
	v_mul_f64 v[52:53], v[64:65], v[62:63]
	s_delay_alu instid0(VALU_DEP_2) | instskip(SKIP_1) | instid1(VALU_DEP_1)
	v_fma_f64 v[58:59], v[64:65], v[60:61], -v[42:43]
	v_add_co_u32 v42, s0, 0xb000, v88
	v_add_co_ci_u32_e64 v43, s0, 0, v89, s0
	s_delay_alu instid0(VALU_DEP_4) | instskip(SKIP_1) | instid1(VALU_DEP_1)
	v_fma_f64 v[60:61], v[66:67], v[60:61], v[52:53]
	v_add_co_u32 v52, s0, 0xc000, v88
	v_add_co_ci_u32_e64 v53, s0, 0, v89, s0
	s_clause 0x1
	global_load_b128 v[62:65], v[42:43], off offset:1600
	global_load_b128 v[76:79], v[52:53], off offset:96
	s_waitcnt vmcnt(1) lgkmcnt(0)
	v_mul_f64 v[42:43], v[70:71], v[64:65]
	v_mul_f64 v[66:67], v[68:69], v[64:65]
	s_delay_alu instid0(VALU_DEP_2) | instskip(NEXT) | instid1(VALU_DEP_2)
	v_fma_f64 v[64:65], v[68:69], v[62:63], -v[42:43]
	v_fma_f64 v[66:67], v[70:71], v[62:63], v[66:67]
	ds_load_b128 v[68:71], v170 offset:20736
	ds_load_b128 v[80:83], v170 offset:23328
	s_waitcnt vmcnt(0) lgkmcnt(1)
	v_mul_f64 v[42:43], v[70:71], v[78:79]
	v_mul_f64 v[62:63], v[68:69], v[78:79]
	s_delay_alu instid0(VALU_DEP_2) | instskip(SKIP_1) | instid1(VALU_DEP_1)
	v_fma_f64 v[68:69], v[68:69], v[76:77], -v[42:43]
	v_add_co_u32 v42, s0, 0xd000, v88
	v_add_co_ci_u32_e64 v43, s0, 0, v89, s0
	s_delay_alu instid0(VALU_DEP_4)
	v_fma_f64 v[70:71], v[70:71], v[76:77], v[62:63]
	s_clause 0x1
	global_load_b128 v[76:79], v[52:53], off offset:2688
	global_load_b128 v[84:87], v[42:43], off offset:1184
	ds_load_b128 v[72:75], v170 offset:25920
	s_waitcnt vmcnt(1) lgkmcnt(1)
	v_mul_f64 v[42:43], v[82:83], v[78:79]
	v_mul_f64 v[52:53], v[80:81], v[78:79]
	s_delay_alu instid0(VALU_DEP_2) | instskip(NEXT) | instid1(VALU_DEP_2)
	v_fma_f64 v[78:79], v[80:81], v[76:77], -v[42:43]
	v_fma_f64 v[80:81], v[82:83], v[76:77], v[52:53]
	s_waitcnt vmcnt(0) lgkmcnt(0)
	v_mul_f64 v[42:43], v[74:75], v[86:87]
	v_mul_f64 v[52:53], v[72:73], v[86:87]
	s_delay_alu instid0(VALU_DEP_2) | instskip(NEXT) | instid1(VALU_DEP_2)
	v_fma_f64 v[72:73], v[72:73], v[84:85], -v[42:43]
	v_fma_f64 v[74:75], v[74:75], v[84:85], v[52:53]
	ds_store_b128 v170, v[30:33]
	ds_store_b128 v170, v[34:37] offset:2592
	ds_store_b128 v170, v[38:41] offset:5184
	ds_store_b128 v170, v[44:47] offset:7776
	ds_store_b128 v170, v[48:51] offset:10368
	ds_store_b128 v170, v[54:57] offset:12960
	ds_store_b128 v170, v[58:61] offset:15552
	ds_store_b128 v170, v[64:67] offset:18144
	ds_store_b128 v170, v[68:71] offset:20736
	ds_store_b128 v170, v[78:81] offset:23328
	ds_store_b128 v170, v[72:75] offset:25920
	s_and_saveexec_b32 s1, vcc_lo
	s_cbranch_execz .LBB0_9
; %bb.8:
	global_load_b128 v[30:33], v[28:29], off offset:1584
	v_add_co_u32 v38, s0, 0x1000, v28
	s_delay_alu instid0(VALU_DEP_1)
	v_add_co_ci_u32_e64 v39, s0, 0, v29, s0
	v_add_co_u32 v46, s0, 0x2000, v28
	s_clause 0x1
	global_load_b128 v[34:37], v[38:39], off offset:80
	global_load_b128 v[38:41], v[38:39], off offset:2672
	v_add_co_ci_u32_e64 v47, s0, 0, v29, s0
	s_clause 0x1
	global_load_b128 v[42:45], v[46:47], off offset:1168
	global_load_b128 v[46:49], v[46:47], off offset:3760
	v_add_co_u32 v50, s0, 0x3000, v28
	s_delay_alu instid0(VALU_DEP_1) | instskip(SKIP_1) | instid1(VALU_DEP_1)
	v_add_co_ci_u32_e64 v51, s0, 0, v29, s0
	v_add_co_u32 v58, s0, 0x4000, v28
	v_add_co_ci_u32_e64 v59, s0, 0, v29, s0
	s_clause 0x2
	global_load_b128 v[50:53], v[50:51], off offset:2256
	global_load_b128 v[54:57], v[58:59], off offset:752
	;; [unrolled: 1-line block ×3, first 2 shown]
	v_add_co_u32 v62, s0, 0x5000, v28
	s_delay_alu instid0(VALU_DEP_1) | instskip(SKIP_1) | instid1(VALU_DEP_1)
	v_add_co_ci_u32_e64 v63, s0, 0, v29, s0
	v_add_co_u32 v28, s0, 0x6000, v28
	v_add_co_ci_u32_e64 v29, s0, 0, v29, s0
	s_clause 0x2
	global_load_b128 v[62:65], v[62:63], off offset:1840
	global_load_b128 v[66:69], v[28:29], off offset:336
	;; [unrolled: 1-line block ×3, first 2 shown]
	ds_load_b128 v[74:77], v170 offset:1584
	ds_load_b128 v[78:81], v170 offset:4176
	;; [unrolled: 1-line block ×3, first 2 shown]
	s_waitcnt vmcnt(10) lgkmcnt(2)
	v_mul_f64 v[28:29], v[76:77], v[32:33]
	v_mul_f64 v[32:33], v[74:75], v[32:33]
	s_waitcnt vmcnt(9) lgkmcnt(1)
	v_mul_f64 v[86:87], v[80:81], v[36:37]
	v_mul_f64 v[36:37], v[78:79], v[36:37]
	s_delay_alu instid0(VALU_DEP_4) | instskip(NEXT) | instid1(VALU_DEP_4)
	v_fma_f64 v[28:29], v[74:75], v[30:31], -v[28:29]
	v_fma_f64 v[30:31], v[76:77], v[30:31], v[32:33]
	ds_load_b128 v[74:77], v170 offset:9360
	s_waitcnt vmcnt(8) lgkmcnt(1)
	v_mul_f64 v[90:91], v[84:85], v[40:41]
	v_mul_f64 v[40:41], v[82:83], v[40:41]
	v_fma_f64 v[32:33], v[78:79], v[34:35], -v[86:87]
	v_fma_f64 v[34:35], v[80:81], v[34:35], v[36:37]
	ds_load_b128 v[78:81], v170 offset:11952
	s_waitcnt vmcnt(7) lgkmcnt(1)
	v_mul_f64 v[86:87], v[76:77], v[44:45]
	v_mul_f64 v[44:45], v[74:75], v[44:45]
	;; [unrolled: 6-line block ×8, first 2 shown]
	v_fma_f64 v[60:61], v[82:83], v[62:63], -v[90:91]
	s_waitcnt vmcnt(0) lgkmcnt(0)
	v_mul_f64 v[82:83], v[80:81], v[72:73]
	v_mul_f64 v[72:73], v[78:79], v[72:73]
	v_fma_f64 v[62:63], v[84:85], v[62:63], v[64:65]
	v_fma_f64 v[64:65], v[74:75], v[66:67], -v[86:87]
	v_fma_f64 v[66:67], v[76:77], v[66:67], v[68:69]
	v_fma_f64 v[68:69], v[78:79], v[70:71], -v[82:83]
	v_fma_f64 v[70:71], v[80:81], v[70:71], v[72:73]
	ds_store_b128 v170, v[28:31] offset:1584
	ds_store_b128 v170, v[32:35] offset:4176
	;; [unrolled: 1-line block ×11, first 2 shown]
.LBB0_9:
	s_or_b32 exec_lo, exec_lo, s1
	s_waitcnt lgkmcnt(0)
	s_barrier
	buffer_gl0_inv
	ds_load_b128 v[44:47], v170
	ds_load_b128 v[56:59], v170 offset:2592
	ds_load_b128 v[36:39], v170 offset:5184
	;; [unrolled: 1-line block ×10, first 2 shown]
	s_and_saveexec_b32 s0, vcc_lo
	s_cbranch_execz .LBB0_11
; %bb.10:
	ds_load_b128 v[4:7], v170 offset:1584
	ds_load_b128 v[12:15], v170 offset:4176
	;; [unrolled: 1-line block ×8, first 2 shown]
	s_waitcnt lgkmcnt(0)
	scratch_store_b128 off, v[72:75], off offset:56 ; 16-byte Folded Spill
	ds_load_b128 v[72:75], v170 offset:22320
	s_waitcnt lgkmcnt(0)
	scratch_store_b128 off, v[72:75], off offset:40 ; 16-byte Folded Spill
	ds_load_b128 v[72:75], v170 offset:24912
	;; [unrolled: 3-line block ×3, first 2 shown]
	s_waitcnt lgkmcnt(0)
	scratch_store_b128 off, v[72:75], off offset:8 ; 16-byte Folded Spill
.LBB0_11:
	s_or_b32 exec_lo, exec_lo, s0
	s_waitcnt lgkmcnt(9)
	v_add_f64 v[72:73], v[44:45], v[56:57]
	v_add_f64 v[74:75], v[46:47], v[58:59]
	s_mov_b32 s24, 0xf8bb580b
	s_mov_b32 s20, 0x8eee2c13
	;; [unrolled: 1-line block ×8, first 2 shown]
	s_waitcnt lgkmcnt(4)
	v_add_f64 v[108:109], v[70:71], v[66:67]
	v_add_f64 v[110:111], v[70:71], -v[66:67]
	s_waitcnt lgkmcnt(0)
	v_add_f64 v[78:79], v[56:57], v[28:29]
	s_mov_b32 s2, 0x8764f0ba
	s_mov_b32 s22, 0xd9c712b6
	;; [unrolled: 1-line block ×10, first 2 shown]
	v_add_f64 v[168:169], v[62:63], v[54:55]
	v_add_f64 v[112:113], v[62:63], -v[54:55]
	v_add_f64 v[56:57], v[56:57], -v[28:29]
	;; [unrolled: 1-line block ×3, first 2 shown]
	s_mov_b32 s31, 0x3fe14ced
	s_mov_b32 s27, 0x3fed1bb4
	;; [unrolled: 1-line block ×10, first 2 shown]
	v_add_f64 v[132:133], v[42:43], -v[50:51]
	v_add_f64 v[72:73], v[72:73], v[36:37]
	v_add_f64 v[74:75], v[74:75], v[38:39]
	;; [unrolled: 1-line block ×3, first 2 shown]
	s_waitcnt_vscnt null, 0x0
	s_barrier
	buffer_gl0_inv
	v_mul_f64 v[146:147], v[108:109], s[8:9]
	v_mul_f64 v[150:151], v[110:111], s[30:31]
	;; [unrolled: 1-line block ×8, first 2 shown]
	v_add_f64 v[72:73], v[72:73], v[40:41]
	v_add_f64 v[74:75], v[74:75], v[42:43]
	s_delay_alu instid0(VALU_DEP_2) | instskip(NEXT) | instid1(VALU_DEP_2)
	v_add_f64 v[90:91], v[72:73], v[60:61]
	v_add_f64 v[76:77], v[74:75], v[62:63]
	v_add_f64 v[72:73], v[58:59], -v[30:31]
	v_add_f64 v[58:59], v[58:59], v[30:31]
	s_delay_alu instid0(VALU_DEP_4) | instskip(NEXT) | instid1(VALU_DEP_4)
	v_add_f64 v[74:75], v[90:91], v[68:69]
	v_add_f64 v[76:77], v[76:77], v[70:71]
	;; [unrolled: 1-line block ×3, first 2 shown]
	v_add_f64 v[68:69], v[68:69], -v[64:65]
	v_mul_f64 v[80:81], v[72:73], s[24:25]
	v_mul_f64 v[82:83], v[72:73], s[14:15]
	v_add_f64 v[70:71], v[60:61], v[52:53]
	v_add_f64 v[60:61], v[60:61], -v[52:53]
	v_mul_f64 v[100:101], v[58:59], s[12:13]
	v_add_f64 v[64:65], v[74:75], v[64:65]
	v_add_f64 v[66:67], v[76:77], v[66:67]
	v_mul_f64 v[74:75], v[72:73], s[20:21]
	v_mul_f64 v[76:77], v[72:73], s[18:19]
	;; [unrolled: 1-line block ×3, first 2 shown]
	v_fma_f64 v[62:63], v[78:79], s[2:3], v[80:81]
	v_fma_f64 v[80:81], v[78:79], s[2:3], -v[80:81]
	v_fma_f64 v[96:97], v[78:79], s[12:13], v[82:83]
	v_fma_f64 v[82:83], v[78:79], s[12:13], -v[82:83]
	v_fma_f64 v[116:117], v[56:57], s[36:37], v[100:101]
	v_fma_f64 v[100:101], v[56:57], s[14:15], v[100:101]
	v_add_f64 v[84:85], v[64:65], v[52:53]
	v_add_f64 v[86:87], v[66:67], v[54:55]
	v_fma_f64 v[64:65], v[78:79], s[22:23], v[74:75]
	v_fma_f64 v[66:67], v[78:79], s[22:23], -v[74:75]
	v_fma_f64 v[74:75], v[78:79], s[16:17], v[76:77]
	v_fma_f64 v[76:77], v[78:79], s[16:17], -v[76:77]
	;; [unrolled: 2-line block ×3, first 2 shown]
	v_mul_f64 v[52:53], v[58:59], s[2:3]
	v_mul_f64 v[54:55], v[58:59], s[22:23]
	;; [unrolled: 1-line block ×4, first 2 shown]
	v_add_f64 v[122:123], v[44:45], v[62:63]
	v_add_f64 v[62:63], v[44:45], v[82:83]
	;; [unrolled: 1-line block ×10, first 2 shown]
	v_mul_f64 v[86:87], v[144:145], s[22:23]
	v_mul_f64 v[84:85], v[132:133], s[18:19]
	v_add_f64 v[66:67], v[44:45], v[72:73]
	v_fma_f64 v[102:103], v[56:57], s[30:31], v[52:53]
	v_fma_f64 v[52:53], v[56:57], s[24:25], v[52:53]
	;; [unrolled: 1-line block ×8, first 2 shown]
	v_mul_f64 v[72:73], v[138:139], s[20:21]
	v_add_f64 v[54:55], v[44:45], v[80:81]
	v_add_f64 v[56:57], v[44:45], v[76:77]
	;; [unrolled: 1-line block ×3, first 2 shown]
	v_add_f64 v[80:81], v[36:37], -v[32:33]
	v_add_f64 v[74:75], v[44:45], v[74:75]
	v_add_f64 v[130:131], v[44:45], v[98:99]
	v_add_f64 v[44:45], v[40:41], -v[48:49]
	v_mul_f64 v[48:49], v[168:169], s[12:13]
	v_mul_f64 v[100:101], v[144:145], s[12:13]
	v_add_f64 v[102:103], v[46:47], v[102:103]
	v_add_f64 v[52:53], v[46:47], v[52:53]
	;; [unrolled: 1-line block ×9, first 2 shown]
	v_fma_f64 v[36:37], v[82:83], s[22:23], v[72:73]
	v_mul_f64 v[50:51], v[112:113], s[14:15]
	v_fma_f64 v[40:41], v[76:77], s[16:17], v[84:85]
	v_fma_f64 v[38:39], v[80:81], s[26:27], v[86:87]
	v_fma_f64 v[72:73], v[82:83], s[22:23], -v[72:73]
	v_fma_f64 v[96:97], v[80:81], s[36:37], v[100:101]
	v_fma_f64 v[100:101], v[80:81], s[14:15], v[100:101]
	v_mul_f64 v[78:79], v[120:121], s[16:17]
	v_add_f64 v[36:37], v[36:37], v[122:123]
	v_mul_f64 v[122:123], v[110:111], s[0:1]
	v_add_f64 v[38:39], v[38:39], v[102:103]
	;; [unrolled: 2-line block ×3, first 2 shown]
	v_add_f64 v[96:97], v[96:97], v[104:105]
	v_mul_f64 v[104:105], v[120:121], s[8:9]
	v_add_f64 v[100:101], v[100:101], v[106:107]
	v_add_f64 v[36:37], v[40:41], v[36:37]
	v_fma_f64 v[40:41], v[44:45], s[34:35], v[78:79]
	v_fma_f64 v[98:99], v[76:77], s[8:9], v[102:103]
	v_fma_f64 v[102:103], v[76:77], s[8:9], -v[102:103]
	s_delay_alu instid0(VALU_DEP_3) | instskip(SKIP_2) | instid1(VALU_DEP_2)
	v_add_f64 v[38:39], v[40:41], v[38:39]
	v_fma_f64 v[40:41], v[70:71], s[12:13], v[50:51]
	v_fma_f64 v[50:51], v[70:71], s[12:13], -v[50:51]
	v_add_f64 v[36:37], v[40:41], v[36:37]
	v_fma_f64 v[40:41], v[60:61], s[36:37], v[48:49]
	v_fma_f64 v[48:49], v[60:61], s[14:15], v[48:49]
	s_delay_alu instid0(VALU_DEP_2) | instskip(SKIP_1) | instid1(VALU_DEP_1)
	v_add_f64 v[38:39], v[40:41], v[38:39]
	v_fma_f64 v[40:41], v[90:91], s[8:9], v[122:123]
	v_add_f64 v[36:37], v[40:41], v[36:37]
	v_fma_f64 v[40:41], v[68:69], s[28:29], v[146:147]
	s_delay_alu instid0(VALU_DEP_1) | instskip(SKIP_1) | instid1(VALU_DEP_1)
	v_add_f64 v[38:39], v[40:41], v[38:39]
	v_mul_f64 v[40:41], v[138:139], s[14:15]
	v_fma_f64 v[42:43], v[82:83], s[12:13], v[40:41]
	v_fma_f64 v[40:41], v[82:83], s[12:13], -v[40:41]
	s_delay_alu instid0(VALU_DEP_2) | instskip(SKIP_1) | instid1(VALU_DEP_3)
	v_add_f64 v[42:43], v[42:43], v[124:125]
	v_mul_f64 v[124:125], v[112:113], s[34:35]
	v_add_f64 v[40:41], v[40:41], v[126:127]
	v_mul_f64 v[126:127], v[144:145], s[8:9]
	s_delay_alu instid0(VALU_DEP_4) | instskip(SKIP_1) | instid1(VALU_DEP_4)
	v_add_f64 v[42:43], v[98:99], v[42:43]
	v_fma_f64 v[98:99], v[44:45], s[0:1], v[104:105]
	v_add_f64 v[40:41], v[102:103], v[40:41]
	v_fma_f64 v[102:103], v[44:45], s[28:29], v[104:105]
	s_delay_alu instid0(VALU_DEP_3) | instskip(SKIP_1) | instid1(VALU_DEP_3)
	v_add_f64 v[96:97], v[98:99], v[96:97]
	v_fma_f64 v[98:99], v[70:71], s[16:17], v[124:125]
	v_add_f64 v[100:101], v[102:103], v[100:101]
	v_fma_f64 v[102:103], v[70:71], s[16:17], -v[124:125]
	v_mul_f64 v[124:125], v[138:139], s[28:29]
	s_delay_alu instid0(VALU_DEP_4) | instskip(SKIP_1) | instid1(VALU_DEP_4)
	v_add_f64 v[42:43], v[98:99], v[42:43]
	v_fma_f64 v[98:99], v[60:61], s[18:19], v[148:149]
	v_add_f64 v[40:41], v[102:103], v[40:41]
	v_fma_f64 v[102:103], v[60:61], s[34:35], v[148:149]
	v_mul_f64 v[148:149], v[120:121], s[22:23]
	s_delay_alu instid0(VALU_DEP_4) | instskip(SKIP_1) | instid1(VALU_DEP_4)
	v_add_f64 v[98:99], v[98:99], v[96:97]
	v_fma_f64 v[96:97], v[90:91], s[2:3], v[150:151]
	v_add_f64 v[100:101], v[102:103], v[100:101]
	v_fma_f64 v[102:103], v[90:91], s[2:3], -v[150:151]
	v_mul_f64 v[150:151], v[112:113], s[24:25]
	s_delay_alu instid0(VALU_DEP_4) | instskip(SKIP_1) | instid1(VALU_DEP_4)
	v_add_f64 v[96:97], v[96:97], v[42:43]
	v_mul_f64 v[42:43], v[108:109], s[2:3]
	v_add_f64 v[40:41], v[102:103], v[40:41]
	s_delay_alu instid0(VALU_DEP_2) | instskip(SKIP_1) | instid1(VALU_DEP_2)
	v_fma_f64 v[152:153], v[68:69], s[24:25], v[42:43]
	v_fma_f64 v[42:43], v[68:69], s[30:31], v[42:43]
	v_add_f64 v[98:99], v[152:153], v[98:99]
	s_delay_alu instid0(VALU_DEP_2) | instskip(SKIP_2) | instid1(VALU_DEP_2)
	v_add_f64 v[42:43], v[42:43], v[100:101]
	v_fma_f64 v[100:101], v[82:83], s[8:9], v[124:125]
	v_mul_f64 v[152:153], v[168:169], s[2:3]
	v_add_f64 v[74:75], v[100:101], v[74:75]
	v_fma_f64 v[100:101], v[80:81], s[0:1], v[126:127]
	s_delay_alu instid0(VALU_DEP_1) | instskip(SKIP_1) | instid1(VALU_DEP_1)
	v_add_f64 v[100:101], v[100:101], v[114:115]
	v_mul_f64 v[114:115], v[132:133], s[26:27]
	v_fma_f64 v[102:103], v[76:77], s[22:23], v[114:115]
	s_delay_alu instid0(VALU_DEP_1) | instskip(SKIP_1) | instid1(VALU_DEP_1)
	v_add_f64 v[74:75], v[102:103], v[74:75]
	v_fma_f64 v[102:103], v[44:45], s[20:21], v[148:149]
	v_add_f64 v[100:101], v[102:103], v[100:101]
	v_fma_f64 v[102:103], v[70:71], s[2:3], v[150:151]
	s_delay_alu instid0(VALU_DEP_1) | instskip(SKIP_1) | instid1(VALU_DEP_1)
	v_add_f64 v[74:75], v[102:103], v[74:75]
	v_fma_f64 v[102:103], v[60:61], s[30:31], v[152:153]
	v_add_f64 v[102:103], v[102:103], v[100:101]
	v_fma_f64 v[100:101], v[90:91], s[12:13], v[154:155]
	s_delay_alu instid0(VALU_DEP_1) | instskip(SKIP_1) | instid1(VALU_DEP_1)
	v_add_f64 v[100:101], v[100:101], v[74:75]
	v_mul_f64 v[74:75], v[108:109], s[12:13]
	v_fma_f64 v[104:105], v[68:69], s[36:37], v[74:75]
	s_delay_alu instid0(VALU_DEP_1) | instskip(SKIP_1) | instid1(VALU_DEP_1)
	v_add_f64 v[102:103], v[104:105], v[102:103]
	v_fma_f64 v[104:105], v[82:83], s[16:17], v[156:157]
	v_add_f64 v[104:105], v[104:105], v[128:129]
	v_mul_f64 v[128:129], v[144:145], s[16:17]
	s_delay_alu instid0(VALU_DEP_1) | instskip(NEXT) | instid1(VALU_DEP_1)
	v_fma_f64 v[106:107], v[80:81], s[18:19], v[128:129]
	v_add_f64 v[106:107], v[106:107], v[116:117]
	v_mul_f64 v[116:117], v[132:133], s[24:25]
	v_mul_f64 v[132:133], v[132:133], s[14:15]
	s_delay_alu instid0(VALU_DEP_2) | instskip(NEXT) | instid1(VALU_DEP_1)
	v_fma_f64 v[158:159], v[76:77], s[2:3], v[116:117]
	v_add_f64 v[104:105], v[158:159], v[104:105]
	v_mul_f64 v[158:159], v[120:121], s[2:3]
	v_mul_f64 v[120:121], v[120:121], s[12:13]
	s_delay_alu instid0(VALU_DEP_2) | instskip(NEXT) | instid1(VALU_DEP_2)
	v_fma_f64 v[164:165], v[44:45], s[30:31], v[158:159]
	v_fma_f64 v[72:73], v[44:45], s[14:15], v[120:121]
	s_delay_alu instid0(VALU_DEP_2) | instskip(SKIP_2) | instid1(VALU_DEP_2)
	v_add_f64 v[106:107], v[164:165], v[106:107]
	v_mul_f64 v[164:165], v[112:113], s[0:1]
	v_mul_f64 v[112:113], v[112:113], s[26:27]
	v_fma_f64 v[166:167], v[70:71], s[8:9], v[164:165]
	s_delay_alu instid0(VALU_DEP_1) | instskip(SKIP_1) | instid1(VALU_DEP_1)
	v_add_f64 v[104:105], v[166:167], v[104:105]
	v_mul_f64 v[166:167], v[168:169], s[8:9]
	v_fma_f64 v[92:93], v[60:61], s[28:29], v[166:167]
	s_delay_alu instid0(VALU_DEP_1) | instskip(SKIP_1) | instid1(VALU_DEP_1)
	v_add_f64 v[92:93], v[92:93], v[106:107]
	v_fma_f64 v[106:107], v[90:91], s[22:23], v[94:95]
	v_add_f64 v[104:105], v[106:107], v[104:105]
	v_fma_f64 v[106:107], v[68:69], s[20:21], v[172:173]
	s_delay_alu instid0(VALU_DEP_1) | instskip(SKIP_1) | instid1(VALU_DEP_1)
	v_add_f64 v[106:107], v[106:107], v[92:93]
	v_mul_f64 v[92:93], v[138:139], s[30:31]
	v_fma_f64 v[138:139], v[82:83], s[2:3], v[92:93]
	v_fma_f64 v[92:93], v[82:83], s[2:3], -v[92:93]
	s_delay_alu instid0(VALU_DEP_2) | instskip(SKIP_1) | instid1(VALU_DEP_1)
	v_add_f64 v[130:131], v[138:139], v[130:131]
	v_mul_f64 v[138:139], v[144:145], s[2:3]
	v_fma_f64 v[144:145], v[80:81], s[24:25], v[138:139]
	s_delay_alu instid0(VALU_DEP_1) | instskip(SKIP_1) | instid1(VALU_DEP_1)
	v_add_f64 v[118:119], v[144:145], v[118:119]
	v_fma_f64 v[144:145], v[76:77], s[12:13], v[132:133]
	v_add_f64 v[130:131], v[144:145], v[130:131]
	v_fma_f64 v[144:145], v[44:45], s[36:37], v[120:121]
	s_delay_alu instid0(VALU_DEP_1) | instskip(SKIP_1) | instid1(VALU_DEP_1)
	v_add_f64 v[118:119], v[144:145], v[118:119]
	v_fma_f64 v[144:145], v[70:71], s[22:23], v[112:113]
	v_add_f64 v[130:131], v[144:145], v[130:131]
	v_mul_f64 v[144:145], v[168:169], s[22:23]
	s_delay_alu instid0(VALU_DEP_1) | instskip(NEXT) | instid1(VALU_DEP_1)
	v_fma_f64 v[168:169], v[60:61], s[20:21], v[144:145]
	v_add_f64 v[118:119], v[168:169], v[118:119]
	v_mul_f64 v[168:169], v[110:111], s[18:19]
	v_fma_f64 v[110:111], v[68:69], s[34:35], v[174:175]
	s_delay_alu instid0(VALU_DEP_2) | instskip(NEXT) | instid1(VALU_DEP_2)
	v_fma_f64 v[108:109], v[90:91], s[16:17], v[168:169]
	v_add_f64 v[110:111], v[110:111], v[118:119]
	v_add_f64 v[118:119], v[134:135], v[32:33]
	v_fma_f64 v[32:33], v[82:83], s[8:9], -v[124:125]
	v_fma_f64 v[124:125], v[80:81], s[34:35], v[128:129]
	v_add_f64 v[108:109], v[108:109], v[130:131]
	v_add_f64 v[130:131], v[136:137], v[34:35]
	v_fma_f64 v[34:35], v[82:83], s[16:17], -v[156:157]
	v_fma_f64 v[82:83], v[80:81], s[28:29], v[126:127]
	v_fma_f64 v[126:127], v[80:81], s[30:31], v[138:139]
	;; [unrolled: 1-line block ×3, first 2 shown]
	v_fma_f64 v[86:87], v[76:77], s[22:23], -v[114:115]
	v_fma_f64 v[114:115], v[76:77], s[2:3], -v[116:117]
	;; [unrolled: 1-line block ×4, first 2 shown]
	v_add_f64 v[32:33], v[32:33], v[56:57]
	v_add_f64 v[28:29], v[118:119], v[28:29]
	;; [unrolled: 1-line block ×8, first 2 shown]
	v_fma_f64 v[64:65], v[44:45], s[26:27], v[148:149]
	v_fma_f64 v[66:67], v[44:45], s[24:25], v[158:159]
	;; [unrolled: 1-line block ×3, first 2 shown]
	v_add_f64 v[52:53], v[80:81], v[52:53]
	v_fma_f64 v[78:79], v[70:71], s[2:3], -v[150:151]
	v_fma_f64 v[80:81], v[70:71], s[8:9], -v[164:165]
	;; [unrolled: 1-line block ×3, first 2 shown]
	v_add_f64 v[54:55], v[76:77], v[54:55]
	v_fma_f64 v[70:71], v[60:61], s[26:27], v[144:145]
	v_add_f64 v[32:33], v[86:87], v[32:33]
	v_fma_f64 v[76:77], v[90:91], s[8:9], -v[122:123]
	v_add_f64 v[34:35], v[114:115], v[34:35]
	v_add_f64 v[62:63], v[116:117], v[62:63]
	v_add_f64 v[46:47], v[72:73], v[46:47]
	v_fma_f64 v[72:73], v[90:91], s[16:17], -v[168:169]
	v_add_f64 v[56:57], v[64:65], v[56:57]
	v_add_f64 v[58:59], v[66:67], v[58:59]
	v_fma_f64 v[64:65], v[60:61], s[24:25], v[152:153]
	v_fma_f64 v[66:67], v[60:61], s[0:1], v[166:167]
	v_add_f64 v[44:45], v[44:45], v[52:53]
	v_fma_f64 v[60:61], v[90:91], s[22:23], -v[94:95]
	v_fma_f64 v[52:53], v[90:91], s[12:13], -v[154:155]
	v_add_f64 v[54:55], v[50:51], v[54:55]
	v_fma_f64 v[50:51], v[68:69], s[18:19], v[174:175]
	v_add_f64 v[32:33], v[78:79], v[32:33]
	v_add_f64 v[34:35], v[80:81], v[34:35]
	;; [unrolled: 1-line block ×6, first 2 shown]
	v_fma_f64 v[64:65], v[68:69], s[26:27], v[172:173]
	v_fma_f64 v[66:67], v[68:69], s[14:15], v[74:75]
	;; [unrolled: 1-line block ×3, first 2 shown]
	v_add_f64 v[70:71], v[48:49], v[44:45]
	v_add_f64 v[32:33], v[52:53], v[32:33]
	;; [unrolled: 1-line block ×9, first 2 shown]
	ds_store_b128 v171, v[96:99] offset:32
	ds_store_b128 v171, v[100:103] offset:48
	ds_store_b128 v171, v[104:107] offset:64
	ds_store_b128 v171, v[108:111] offset:80
	ds_store_b128 v171, v[48:51] offset:96
	ds_store_b128 v171, v[44:47] offset:112
	ds_store_b128 v171, v[32:35] offset:128
	ds_store_b128 v171, v[40:43] offset:144
	ds_store_b128 v171, v[36:39] offset:16
	ds_store_b128 v171, v[28:31]
	ds_store_b128 v171, v[52:55] offset:160
	s_and_saveexec_b32 s33, vcc_lo
	s_cbranch_execz .LBB0_13
; %bb.12:
	s_clause 0x2
	scratch_load_b128 v[112:115], off, off offset:8
	scratch_load_b128 v[116:119], off, off offset:24
	;; [unrolled: 1-line block ×3, first 2 shown]
	v_add_f64 v[28:29], v[6:7], v[14:15]
	v_add_f64 v[30:31], v[4:5], v[12:13]
	v_add_f64 v[34:35], v[20:21], -v[24:25]
	v_add_f64 v[38:39], v[22:23], -v[26:27]
	v_add_f64 v[44:45], v[22:23], v[26:27]
	v_add_f64 v[28:29], v[28:29], v[2:3]
	;; [unrolled: 1-line block ×3, first 2 shown]
	v_mul_f64 v[108:109], v[34:35], s[14:15]
	v_mul_f64 v[110:111], v[38:39], s[14:15]
	s_delay_alu instid0(VALU_DEP_4) | instskip(NEXT) | instid1(VALU_DEP_4)
	v_add_f64 v[28:29], v[28:29], v[10:11]
	v_add_f64 v[30:31], v[30:31], v[8:9]
	s_delay_alu instid0(VALU_DEP_2) | instskip(NEXT) | instid1(VALU_DEP_2)
	v_add_f64 v[28:29], v[28:29], v[18:19]
	v_add_f64 v[30:31], v[30:31], v[16:17]
	s_delay_alu instid0(VALU_DEP_2) | instskip(NEXT) | instid1(VALU_DEP_2)
	;; [unrolled: 3-line block ×3, first 2 shown]
	v_add_f64 v[22:23], v[28:29], v[26:27]
	v_add_f64 v[26:27], v[30:31], v[24:25]
	;; [unrolled: 1-line block ×3, first 2 shown]
	s_waitcnt vmcnt(2)
	v_add_f64 v[32:33], v[12:13], -v[112:113]
	v_add_f64 v[40:41], v[14:15], v[114:115]
	s_waitcnt vmcnt(0)
	v_add_f64 v[30:31], v[18:19], -v[52:53]
	v_add_f64 v[48:49], v[18:19], v[52:53]
	v_add_f64 v[14:15], v[14:15], -v[114:115]
	v_add_f64 v[36:37], v[16:17], -v[50:51]
	v_add_f64 v[12:13], v[12:13], v[112:113]
	v_add_f64 v[22:23], v[22:23], v[52:53]
	v_add_f64 v[26:27], v[26:27], v[50:51]
	v_add_f64 v[86:87], v[0:1], -v[116:117]
	v_add_f64 v[92:93], v[2:3], v[118:119]
	v_add_f64 v[90:91], v[2:3], -v[118:119]
	v_add_f64 v[94:95], v[0:1], v[116:117]
	v_mul_f64 v[42:43], v[32:33], s[0:1]
	v_mul_f64 v[28:29], v[32:33], s[14:15]
	;; [unrolled: 1-line block ×5, first 2 shown]
	v_add_f64 v[32:33], v[16:17], v[50:51]
	v_mul_f64 v[58:59], v[14:15], s[14:15]
	v_mul_f64 v[60:61], v[14:15], s[18:19]
	;; [unrolled: 1-line block ×5, first 2 shown]
	v_fma_f64 v[16:17], v[40:41], s[8:9], v[42:43]
	v_fma_f64 v[42:43], v[40:41], s[8:9], -v[42:43]
	v_fma_f64 v[50:51], v[40:41], s[12:13], v[28:29]
	v_fma_f64 v[28:29], v[40:41], s[12:13], -v[28:29]
	;; [unrolled: 2-line block ×3, first 2 shown]
	v_fma_f64 v[54:55], v[40:41], s[22:23], -v[46:47]
	v_fma_f64 v[46:47], v[40:41], s[22:23], v[46:47]
	v_fma_f64 v[56:57], v[40:41], s[2:3], v[18:19]
	v_fma_f64 v[18:19], v[40:41], s[2:3], -v[18:19]
	v_mul_f64 v[40:41], v[14:15], s[0:1]
	v_mul_f64 v[14:15], v[14:15], s[24:25]
	v_fma_f64 v[66:67], v[12:13], s[12:13], -v[58:59]
	v_fma_f64 v[58:59], v[12:13], s[12:13], v[58:59]
	v_fma_f64 v[68:69], v[12:13], s[16:17], v[60:61]
	v_fma_f64 v[60:61], v[12:13], s[16:17], -v[60:61]
	v_fma_f64 v[70:71], v[12:13], s[22:23], v[62:63]
	v_fma_f64 v[62:63], v[12:13], s[22:23], -v[62:63]
	v_add_f64 v[42:43], v[6:7], v[42:43]
	v_add_f64 v[50:51], v[6:7], v[50:51]
	;; [unrolled: 1-line block ×8, first 2 shown]
	v_fma_f64 v[64:65], v[12:13], s[8:9], -v[40:41]
	v_fma_f64 v[40:41], v[12:13], s[8:9], v[40:41]
	v_fma_f64 v[72:73], v[12:13], s[2:3], v[14:15]
	v_fma_f64 v[12:13], v[12:13], s[2:3], -v[14:15]
	v_add_f64 v[14:15], v[6:7], v[16:17]
	v_add_f64 v[58:59], v[4:5], v[58:59]
	;; [unrolled: 1-line block ×12, first 2 shown]
	scratch_load_b128 v[4:7], off, off offset:40 ; 16-byte Folded Reload
	v_mul_f64 v[18:19], v[34:35], s[18:19]
	s_waitcnt vmcnt(0)
	v_add_f64 v[76:77], v[8:9], -v[4:5]
	v_add_f64 v[82:83], v[8:9], v[4:5]
	v_add_f64 v[26:27], v[26:27], v[4:5]
	v_mul_f64 v[4:5], v[86:87], s[30:31]
	v_add_f64 v[80:81], v[10:11], v[6:7]
	v_add_f64 v[78:79], v[10:11], -v[6:7]
	v_add_f64 v[84:85], v[22:23], v[6:7]
	v_mul_f64 v[6:7], v[90:91], s[30:31]
	v_mul_f64 v[22:23], v[38:39], s[18:19]
	;; [unrolled: 1-line block ×3, first 2 shown]
	v_fma_f64 v[0:1], v[92:93], s[2:3], v[4:5]
	v_fma_f64 v[4:5], v[92:93], s[2:3], -v[4:5]
	v_add_f64 v[84:85], v[84:85], v[118:119]
	v_fma_f64 v[2:3], v[94:95], s[2:3], -v[6:7]
	v_fma_f64 v[6:7], v[94:95], s[2:3], v[6:7]
	v_fma_f64 v[10:11], v[80:81], s[12:13], v[8:9]
	v_fma_f64 v[8:9], v[80:81], s[12:13], -v[8:9]
	v_add_f64 v[0:1], v[0:1], v[14:15]
	v_add_f64 v[4:5], v[4:5], v[42:43]
	;; [unrolled: 1-line block ×4, first 2 shown]
	s_delay_alu instid0(VALU_DEP_4) | instskip(SKIP_2) | instid1(VALU_DEP_2)
	v_add_f64 v[0:1], v[10:11], v[0:1]
	v_mul_f64 v[10:11], v[78:79], s[14:15]
	v_add_f64 v[4:5], v[8:9], v[4:5]
	v_fma_f64 v[12:13], v[82:83], s[12:13], -v[10:11]
	v_fma_f64 v[8:9], v[82:83], s[12:13], v[10:11]
	v_fma_f64 v[10:11], v[24:25], s[16:17], v[22:23]
	s_delay_alu instid0(VALU_DEP_3) | instskip(SKIP_1) | instid1(VALU_DEP_4)
	v_add_f64 v[2:3], v[12:13], v[2:3]
	v_mul_f64 v[12:13], v[36:37], s[26:27]
	v_add_f64 v[6:7], v[8:9], v[6:7]
	s_delay_alu instid0(VALU_DEP_2) | instskip(SKIP_2) | instid1(VALU_DEP_3)
	v_fma_f64 v[14:15], v[48:49], s[22:23], v[12:13]
	v_fma_f64 v[8:9], v[48:49], s[22:23], -v[12:13]
	v_mul_f64 v[12:13], v[86:87], s[34:35]
	v_add_f64 v[0:1], v[14:15], v[0:1]
	v_mul_f64 v[14:15], v[30:31], s[26:27]
	s_delay_alu instid0(VALU_DEP_4) | instskip(NEXT) | instid1(VALU_DEP_2)
	v_add_f64 v[4:5], v[8:9], v[4:5]
	v_fma_f64 v[16:17], v[32:33], s[22:23], -v[14:15]
	v_fma_f64 v[8:9], v[32:33], s[22:23], v[14:15]
	v_mul_f64 v[14:15], v[90:91], s[34:35]
	s_delay_alu instid0(VALU_DEP_3) | instskip(SKIP_1) | instid1(VALU_DEP_4)
	v_add_f64 v[16:17], v[16:17], v[2:3]
	v_fma_f64 v[2:3], v[44:45], s[16:17], v[18:19]
	v_add_f64 v[8:9], v[8:9], v[6:7]
	v_fma_f64 v[6:7], v[44:45], s[16:17], -v[18:19]
	s_delay_alu instid0(VALU_DEP_3) | instskip(SKIP_1) | instid1(VALU_DEP_3)
	v_add_f64 v[2:3], v[2:3], v[0:1]
	v_fma_f64 v[0:1], v[24:25], s[16:17], -v[22:23]
	v_add_f64 v[6:7], v[6:7], v[4:5]
	v_add_f64 v[4:5], v[10:11], v[8:9]
	v_fma_f64 v[8:9], v[92:93], s[16:17], v[12:13]
	v_fma_f64 v[10:11], v[94:95], s[16:17], -v[14:15]
	v_fma_f64 v[12:13], v[92:93], s[16:17], -v[12:13]
	v_fma_f64 v[14:15], v[94:95], s[16:17], v[14:15]
	v_add_f64 v[0:1], v[0:1], v[16:17]
	v_mul_f64 v[16:17], v[76:77], s[24:25]
	v_add_f64 v[8:9], v[8:9], v[50:51]
	v_add_f64 v[10:11], v[10:11], v[64:65]
	;; [unrolled: 1-line block ×4, first 2 shown]
	v_mul_f64 v[50:51], v[34:35], s[26:27]
	v_mul_f64 v[64:65], v[38:39], s[26:27]
	;; [unrolled: 1-line block ×4, first 2 shown]
	v_fma_f64 v[18:19], v[80:81], s[2:3], v[16:17]
	v_fma_f64 v[16:17], v[80:81], s[2:3], -v[16:17]
	s_delay_alu instid0(VALU_DEP_2) | instskip(SKIP_1) | instid1(VALU_DEP_3)
	v_add_f64 v[8:9], v[18:19], v[8:9]
	v_mul_f64 v[18:19], v[78:79], s[24:25]
	v_add_f64 v[12:13], v[16:17], v[12:13]
	s_delay_alu instid0(VALU_DEP_2) | instskip(SKIP_2) | instid1(VALU_DEP_3)
	v_fma_f64 v[22:23], v[82:83], s[2:3], -v[18:19]
	v_fma_f64 v[16:17], v[82:83], s[2:3], v[18:19]
	v_fma_f64 v[18:19], v[24:25], s[22:23], v[64:65]
	v_add_f64 v[10:11], v[22:23], v[10:11]
	v_mul_f64 v[22:23], v[36:37], s[0:1]
	s_delay_alu instid0(VALU_DEP_4) | instskip(NEXT) | instid1(VALU_DEP_2)
	v_add_f64 v[14:15], v[16:17], v[14:15]
	v_fma_f64 v[40:41], v[48:49], s[8:9], v[22:23]
	v_fma_f64 v[16:17], v[48:49], s[8:9], -v[22:23]
	s_delay_alu instid0(VALU_DEP_2) | instskip(SKIP_1) | instid1(VALU_DEP_3)
	v_add_f64 v[8:9], v[40:41], v[8:9]
	v_mul_f64 v[40:41], v[30:31], s[0:1]
	v_add_f64 v[12:13], v[16:17], v[12:13]
	s_delay_alu instid0(VALU_DEP_2) | instskip(SKIP_3) | instid1(VALU_DEP_4)
	v_fma_f64 v[42:43], v[32:33], s[8:9], -v[40:41]
	v_fma_f64 v[16:17], v[32:33], s[8:9], v[40:41]
	v_mul_f64 v[40:41], v[90:91], s[14:15]
	v_mul_f64 v[90:91], v[90:91], s[20:21]
	v_add_f64 v[42:43], v[42:43], v[10:11]
	v_fma_f64 v[10:11], v[44:45], s[22:23], v[50:51]
	v_add_f64 v[16:17], v[16:17], v[14:15]
	v_fma_f64 v[14:15], v[44:45], s[22:23], -v[50:51]
	v_mul_f64 v[50:51], v[78:79], s[28:29]
	s_delay_alu instid0(VALU_DEP_4) | instskip(SKIP_1) | instid1(VALU_DEP_4)
	v_add_f64 v[10:11], v[10:11], v[8:9]
	v_fma_f64 v[8:9], v[24:25], s[22:23], -v[64:65]
	v_add_f64 v[14:15], v[14:15], v[12:13]
	v_add_f64 v[12:13], v[18:19], v[16:17]
	v_fma_f64 v[16:17], v[92:93], s[12:13], -v[28:29]
	v_fma_f64 v[18:19], v[94:95], s[12:13], v[40:41]
	v_mul_f64 v[64:65], v[34:35], s[30:31]
	v_fma_f64 v[28:29], v[92:93], s[12:13], v[28:29]
	v_fma_f64 v[40:41], v[94:95], s[12:13], -v[40:41]
	v_mul_f64 v[34:35], v[34:35], s[0:1]
	v_add_f64 v[8:9], v[8:9], v[42:43]
	v_mul_f64 v[42:43], v[76:77], s[28:29]
	v_add_f64 v[16:17], v[16:17], v[54:55]
	v_add_f64 v[18:19], v[18:19], v[66:67]
	v_mul_f64 v[54:55], v[36:37], s[34:35]
	v_mul_f64 v[66:67], v[38:39], s[30:31]
	v_add_f64 v[28:29], v[28:29], v[46:47]
	v_add_f64 v[40:41], v[40:41], v[62:63]
	v_fma_f64 v[22:23], v[80:81], s[8:9], -v[42:43]
	v_fma_f64 v[42:43], v[80:81], s[8:9], v[42:43]
	s_delay_alu instid0(VALU_DEP_2) | instskip(SKIP_2) | instid1(VALU_DEP_4)
	v_add_f64 v[16:17], v[22:23], v[16:17]
	v_fma_f64 v[22:23], v[82:83], s[8:9], v[50:51]
	v_fma_f64 v[50:51], v[82:83], s[8:9], -v[50:51]
	v_add_f64 v[28:29], v[42:43], v[28:29]
	s_delay_alu instid0(VALU_DEP_3) | instskip(SKIP_4) | instid1(VALU_DEP_4)
	v_add_f64 v[18:19], v[22:23], v[18:19]
	v_fma_f64 v[22:23], v[48:49], s[16:17], -v[54:55]
	v_fma_f64 v[54:55], v[48:49], s[16:17], v[54:55]
	v_add_f64 v[40:41], v[50:51], v[40:41]
	v_fma_f64 v[50:51], v[44:45], s[12:13], v[108:109]
	v_add_f64 v[16:17], v[22:23], v[16:17]
	v_fma_f64 v[22:23], v[32:33], s[16:17], v[58:59]
	v_fma_f64 v[58:59], v[32:33], s[16:17], -v[58:59]
	v_add_f64 v[28:29], v[54:55], v[28:29]
	s_delay_alu instid0(VALU_DEP_3) | instskip(SKIP_1) | instid1(VALU_DEP_4)
	v_add_f64 v[22:23], v[22:23], v[18:19]
	v_fma_f64 v[18:19], v[44:45], s[2:3], -v[64:65]
	v_add_f64 v[40:41], v[58:59], v[40:41]
	s_delay_alu instid0(VALU_DEP_2) | instskip(SKIP_1) | instid1(VALU_DEP_1)
	v_add_f64 v[18:19], v[18:19], v[16:17]
	v_fma_f64 v[16:17], v[24:25], s[2:3], v[66:67]
	v_add_f64 v[16:17], v[16:17], v[22:23]
	v_fma_f64 v[22:23], v[92:93], s[8:9], -v[96:97]
	s_delay_alu instid0(VALU_DEP_1) | instskip(SKIP_1) | instid1(VALU_DEP_1)
	v_add_f64 v[20:21], v[22:23], v[20:21]
	v_fma_f64 v[22:23], v[94:95], s[8:9], v[98:99]
	v_add_f64 v[22:23], v[22:23], v[68:69]
	v_mul_f64 v[68:69], v[76:77], s[26:27]
	v_mul_f64 v[76:77], v[76:77], s[18:19]
	s_delay_alu instid0(VALU_DEP_2) | instskip(SKIP_1) | instid1(VALU_DEP_2)
	v_fma_f64 v[100:101], v[80:81], s[22:23], -v[68:69]
	v_fma_f64 v[68:69], v[80:81], s[22:23], v[68:69]
	v_add_f64 v[20:21], v[100:101], v[20:21]
	v_mul_f64 v[100:101], v[78:79], s[26:27]
	v_mul_f64 v[78:79], v[78:79], s[18:19]
	s_delay_alu instid0(VALU_DEP_2) | instskip(NEXT) | instid1(VALU_DEP_1)
	v_fma_f64 v[102:103], v[82:83], s[22:23], v[100:101]
	v_add_f64 v[22:23], v[102:103], v[22:23]
	v_mul_f64 v[102:103], v[36:37], s[24:25]
	v_mul_f64 v[36:37], v[36:37], s[14:15]
	s_delay_alu instid0(VALU_DEP_2) | instskip(NEXT) | instid1(VALU_DEP_1)
	v_fma_f64 v[104:105], v[48:49], s[2:3], -v[102:103]
	v_add_f64 v[20:21], v[104:105], v[20:21]
	v_mul_f64 v[104:105], v[30:31], s[24:25]
	v_mul_f64 v[30:31], v[30:31], s[14:15]
	s_delay_alu instid0(VALU_DEP_2) | instskip(NEXT) | instid1(VALU_DEP_2)
	v_fma_f64 v[106:107], v[32:33], s[2:3], v[104:105]
	v_fma_f64 v[62:63], v[32:33], s[12:13], -v[30:31]
	v_fma_f64 v[30:31], v[32:33], s[12:13], v[30:31]
	s_delay_alu instid0(VALU_DEP_3) | instskip(SKIP_1) | instid1(VALU_DEP_1)
	v_add_f64 v[106:107], v[106:107], v[22:23]
	v_fma_f64 v[22:23], v[44:45], s[12:13], -v[108:109]
	v_add_f64 v[22:23], v[22:23], v[20:21]
	v_fma_f64 v[20:21], v[24:25], s[12:13], v[110:111]
	s_delay_alu instid0(VALU_DEP_1) | instskip(SKIP_3) | instid1(VALU_DEP_2)
	v_add_f64 v[20:21], v[20:21], v[106:107]
	v_add_f64 v[106:107], v[26:27], v[116:117]
	v_mul_f64 v[26:27], v[86:87], s[20:21]
	v_fma_f64 v[86:87], v[92:93], s[8:9], v[96:97]
	v_fma_f64 v[96:97], v[92:93], s[22:23], v[26:27]
	v_fma_f64 v[26:27], v[92:93], s[22:23], -v[26:27]
	v_fma_f64 v[92:93], v[94:95], s[8:9], -v[98:99]
	;; [unrolled: 1-line block ×3, first 2 shown]
	v_fma_f64 v[90:91], v[94:95], s[22:23], v[90:91]
	v_fma_f64 v[94:95], v[80:81], s[16:17], v[76:77]
	v_fma_f64 v[76:77], v[80:81], s[16:17], -v[76:77]
	v_fma_f64 v[80:81], v[82:83], s[22:23], -v[100:101]
	;; [unrolled: 1-line block ×3, first 2 shown]
	v_fma_f64 v[78:79], v[82:83], s[16:17], v[78:79]
	v_fma_f64 v[82:83], v[48:49], s[2:3], v[102:103]
	v_fma_f64 v[102:103], v[48:49], s[12:13], v[36:37]
	v_fma_f64 v[36:37], v[48:49], s[12:13], -v[36:37]
	v_add_f64 v[48:49], v[86:87], v[52:53]
	v_add_f64 v[46:47], v[96:97], v[56:57]
	;; [unrolled: 1-line block ×4, first 2 shown]
	v_fma_f64 v[60:61], v[32:33], s[2:3], -v[104:105]
	v_add_f64 v[56:57], v[90:91], v[72:73]
	v_add_f64 v[32:33], v[98:99], v[74:75]
	;; [unrolled: 1-line block ×7, first 2 shown]
	v_fma_f64 v[56:57], v[44:45], s[2:3], v[64:65]
	v_fma_f64 v[64:65], v[44:45], s[8:9], v[34:35]
	v_fma_f64 v[44:45], v[44:45], s[8:9], -v[34:35]
	v_add_f64 v[32:33], v[100:101], v[32:33]
	v_add_f64 v[34:35], v[82:83], v[48:49]
	v_add_f64 v[42:43], v[102:103], v[42:43]
	v_add_f64 v[36:37], v[36:37], v[26:27]
	v_add_f64 v[48:49], v[60:61], v[52:53]
	v_mul_f64 v[26:27], v[38:39], s[0:1]
	v_add_f64 v[46:47], v[30:31], v[46:47]
	v_fma_f64 v[30:31], v[24:25], s[12:13], -v[110:111]
	v_fma_f64 v[38:39], v[24:25], s[2:3], -v[66:67]
	v_add_f64 v[32:33], v[62:63], v[32:33]
	v_fma_f64 v[52:53], v[24:25], s[8:9], v[26:27]
	v_fma_f64 v[54:55], v[24:25], s[8:9], -v[26:27]
	v_add_f64 v[24:25], v[30:31], v[48:49]
	v_add_f64 v[30:31], v[56:57], v[28:29]
	;; [unrolled: 1-line block ×4, first 2 shown]
	scratch_load_b32 v44, off, off offset:796 ; 4-byte Folded Reload
	v_add_f64 v[26:27], v[50:51], v[34:35]
	v_add_f64 v[34:35], v[64:65], v[42:43]
	;; [unrolled: 1-line block ×6, first 2 shown]
	s_waitcnt vmcnt(0)
	v_lshlrev_b32_e32 v44, 4, v44
	ds_store_b128 v44, v[16:19] offset:32
	ds_store_b128 v44, v[20:23] offset:48
	;; [unrolled: 1-line block ×9, first 2 shown]
	ds_store_b128 v44, v[40:43]
	ds_store_b128 v44, v[32:35] offset:160
.LBB0_13:
	s_or_b32 exec_lo, exec_lo, s33
	s_waitcnt lgkmcnt(0)
	s_barrier
	buffer_gl0_inv
	ds_load_b128 v[0:3], v170 offset:9504
	ds_load_b128 v[4:7], v170 offset:11088
	scratch_load_b128 v[14:17], off, off offset:652 ; 16-byte Folded Reload
	s_mov_b32 s0, 0xe8584caa
	s_mov_b32 s1, 0xbfebb67a
	;; [unrolled: 1-line block ×4, first 2 shown]
	s_waitcnt vmcnt(0) lgkmcnt(1)
	v_mul_f64 v[8:9], v[16:17], v[2:3]
	s_delay_alu instid0(VALU_DEP_1) | instskip(SKIP_1) | instid1(VALU_DEP_1)
	v_fma_f64 v[12:13], v[14:15], v[0:1], v[8:9]
	v_mul_f64 v[0:1], v[16:17], v[0:1]
	v_fma_f64 v[14:15], v[14:15], v[2:3], -v[0:1]
	ds_load_b128 v[0:3], v170 offset:19008
	ds_load_b128 v[8:11], v170 offset:20592
	scratch_load_b128 v[18:21], off, off offset:636 ; 16-byte Folded Reload
	s_waitcnt vmcnt(0) lgkmcnt(1)
	v_mul_f64 v[16:17], v[20:21], v[2:3]
	s_delay_alu instid0(VALU_DEP_1)
	v_fma_f64 v[16:17], v[18:19], v[0:1], v[16:17]
	v_mul_f64 v[0:1], v[20:21], v[0:1]
	scratch_load_b128 v[20:23], off, off offset:692 ; 16-byte Folded Reload
	v_fma_f64 v[18:19], v[18:19], v[2:3], -v[0:1]
	s_waitcnt vmcnt(0)
	v_mul_f64 v[0:1], v[22:23], v[6:7]
	s_delay_alu instid0(VALU_DEP_1)
	v_fma_f64 v[32:33], v[20:21], v[4:5], v[0:1]
	v_mul_f64 v[0:1], v[22:23], v[4:5]
	scratch_load_b128 v[2:5], off, off offset:676 ; 16-byte Folded Reload
	v_fma_f64 v[34:35], v[20:21], v[6:7], -v[0:1]
	s_waitcnt vmcnt(0) lgkmcnt(0)
	v_mul_f64 v[0:1], v[4:5], v[10:11]
	s_delay_alu instid0(VALU_DEP_1) | instskip(SKIP_1) | instid1(VALU_DEP_1)
	v_fma_f64 v[36:37], v[2:3], v[8:9], v[0:1]
	v_mul_f64 v[0:1], v[4:5], v[8:9]
	v_fma_f64 v[38:39], v[2:3], v[10:11], -v[0:1]
	ds_load_b128 v[0:3], v170 offset:12672
	ds_load_b128 v[4:7], v170 offset:14256
	scratch_load_b128 v[20:23], off, off offset:300 ; 16-byte Folded Reload
	s_waitcnt vmcnt(0) lgkmcnt(1)
	v_mul_f64 v[8:9], v[22:23], v[2:3]
	s_delay_alu instid0(VALU_DEP_1) | instskip(SKIP_1) | instid1(VALU_DEP_1)
	v_fma_f64 v[40:41], v[20:21], v[0:1], v[8:9]
	v_mul_f64 v[0:1], v[22:23], v[0:1]
	v_fma_f64 v[42:43], v[20:21], v[2:3], -v[0:1]
	ds_load_b128 v[0:3], v170 offset:22176
	ds_load_b128 v[8:11], v170 offset:23760
	scratch_load_b128 v[22:25], off, off offset:508 ; 16-byte Folded Reload
	s_waitcnt vmcnt(0) lgkmcnt(1)
	v_mul_f64 v[20:21], v[24:25], v[2:3]
	s_delay_alu instid0(VALU_DEP_1) | instskip(SKIP_1) | instid1(VALU_DEP_1)
	v_fma_f64 v[44:45], v[22:23], v[0:1], v[20:21]
	v_mul_f64 v[0:1], v[24:25], v[0:1]
	v_fma_f64 v[46:47], v[22:23], v[2:3], -v[0:1]
	scratch_load_b128 v[20:23], off, off offset:524 ; 16-byte Folded Reload
	s_waitcnt vmcnt(0)
	v_mul_f64 v[0:1], v[22:23], v[6:7]
	s_delay_alu instid0(VALU_DEP_1)
	v_fma_f64 v[48:49], v[20:21], v[4:5], v[0:1]
	v_mul_f64 v[0:1], v[22:23], v[4:5]
	scratch_load_b128 v[2:5], off, off offset:572 ; 16-byte Folded Reload
	v_fma_f64 v[50:51], v[20:21], v[6:7], -v[0:1]
	s_waitcnt vmcnt(0) lgkmcnt(0)
	v_mul_f64 v[0:1], v[4:5], v[10:11]
	s_delay_alu instid0(VALU_DEP_1) | instskip(SKIP_1) | instid1(VALU_DEP_1)
	v_fma_f64 v[52:53], v[2:3], v[8:9], v[0:1]
	v_mul_f64 v[0:1], v[4:5], v[8:9]
	v_fma_f64 v[54:55], v[2:3], v[10:11], -v[0:1]
	ds_load_b128 v[0:3], v170 offset:15840
	ds_load_b128 v[4:7], v170 offset:17424
	scratch_load_b128 v[20:23], off, off offset:556 ; 16-byte Folded Reload
	s_waitcnt vmcnt(0) lgkmcnt(1)
	v_mul_f64 v[8:9], v[22:23], v[2:3]
	s_delay_alu instid0(VALU_DEP_1) | instskip(SKIP_1) | instid1(VALU_DEP_1)
	v_fma_f64 v[56:57], v[20:21], v[0:1], v[8:9]
	v_mul_f64 v[0:1], v[22:23], v[0:1]
	v_fma_f64 v[58:59], v[20:21], v[2:3], -v[0:1]
	ds_load_b128 v[0:3], v170 offset:25344
	ds_load_b128 v[8:11], v170 offset:26928
	scratch_load_b128 v[22:25], off, off offset:540 ; 16-byte Folded Reload
	s_waitcnt vmcnt(0) lgkmcnt(1)
	v_mul_f64 v[20:21], v[24:25], v[2:3]
	s_delay_alu instid0(VALU_DEP_1) | instskip(SKIP_1) | instid1(VALU_DEP_1)
	v_fma_f64 v[60:61], v[22:23], v[0:1], v[20:21]
	v_mul_f64 v[0:1], v[24:25], v[0:1]
	v_fma_f64 v[62:63], v[22:23], v[2:3], -v[0:1]
	scratch_load_b128 v[20:23], off, off offset:612 ; 16-byte Folded Reload
	s_waitcnt vmcnt(0)
	v_mul_f64 v[0:1], v[22:23], v[6:7]
	s_delay_alu instid0(VALU_DEP_1)
	v_fma_f64 v[64:65], v[20:21], v[4:5], v[0:1]
	v_mul_f64 v[0:1], v[22:23], v[4:5]
	scratch_load_b128 v[2:5], off, off offset:592 ; 16-byte Folded Reload
	v_fma_f64 v[66:67], v[20:21], v[6:7], -v[0:1]
	s_waitcnt vmcnt(0) lgkmcnt(0)
	v_mul_f64 v[0:1], v[4:5], v[10:11]
	s_delay_alu instid0(VALU_DEP_1) | instskip(SKIP_2) | instid1(VALU_DEP_2)
	v_fma_f64 v[68:69], v[2:3], v[8:9], v[0:1]
	v_mul_f64 v[0:1], v[4:5], v[8:9]
	v_add_f64 v[8:9], v[12:13], v[16:17]
	v_fma_f64 v[70:71], v[2:3], v[10:11], -v[0:1]
	ds_load_b128 v[0:3], v170
	ds_load_b128 v[4:7], v170 offset:1584
	s_waitcnt lgkmcnt(1)
	v_fma_f64 v[10:11], v[8:9], -0.5, v[0:1]
	v_add_f64 v[8:9], v[14:15], v[18:19]
	v_add_f64 v[0:1], v[0:1], v[12:13]
	s_delay_alu instid0(VALU_DEP_2) | instskip(SKIP_2) | instid1(VALU_DEP_4)
	v_fma_f64 v[20:21], v[8:9], -0.5, v[2:3]
	v_add_f64 v[2:3], v[2:3], v[14:15]
	v_add_f64 v[14:15], v[14:15], -v[18:19]
	v_add_f64 v[0:1], v[0:1], v[16:17]
	v_add_f64 v[16:17], v[12:13], -v[16:17]
	s_delay_alu instid0(VALU_DEP_4) | instskip(NEXT) | instid1(VALU_DEP_4)
	v_add_f64 v[2:3], v[2:3], v[18:19]
	v_fma_f64 v[8:9], v[14:15], s[0:1], v[10:11]
	v_fma_f64 v[12:13], v[14:15], s[2:3], v[10:11]
	s_delay_alu instid0(VALU_DEP_4)
	v_fma_f64 v[10:11], v[16:17], s[2:3], v[20:21]
	v_fma_f64 v[14:15], v[16:17], s[0:1], v[20:21]
	ds_load_b128 v[16:19], v170 offset:3168
	ds_load_b128 v[20:23], v170 offset:4752
	;; [unrolled: 1-line block ×4, first 2 shown]
	s_waitcnt lgkmcnt(0)
	s_barrier
	buffer_gl0_inv
	scratch_load_b32 v72, off, off offset:672 ; 4-byte Folded Reload
	s_waitcnt vmcnt(0)
	ds_store_b128 v72, v[0:3]
	ds_store_b128 v72, v[8:11] offset:176
	ds_store_b128 v72, v[12:15] offset:352
	v_add_f64 v[0:1], v[32:33], v[36:37]
	v_add_f64 v[12:13], v[32:33], -v[36:37]
	s_delay_alu instid0(VALU_DEP_2) | instskip(SKIP_2) | instid1(VALU_DEP_2)
	v_fma_f64 v[8:9], v[0:1], -0.5, v[4:5]
	v_add_f64 v[0:1], v[34:35], v[38:39]
	v_add_f64 v[4:5], v[4:5], v[32:33]
	v_fma_f64 v[10:11], v[0:1], -0.5, v[6:7]
	v_add_f64 v[0:1], v[6:7], v[34:35]
	v_add_f64 v[6:7], v[34:35], -v[38:39]
	s_delay_alu instid0(VALU_DEP_2) | instskip(SKIP_1) | instid1(VALU_DEP_3)
	v_add_f64 v[2:3], v[0:1], v[38:39]
	v_add_f64 v[0:1], v[4:5], v[36:37]
	v_fma_f64 v[4:5], v[6:7], s[0:1], v[8:9]
	v_fma_f64 v[8:9], v[6:7], s[2:3], v[8:9]
	v_fma_f64 v[6:7], v[12:13], s[2:3], v[10:11]
	v_fma_f64 v[10:11], v[12:13], s[0:1], v[10:11]
	scratch_load_b32 v12, off, off offset:668 ; 4-byte Folded Reload
	s_waitcnt vmcnt(0)
	ds_store_b128 v12, v[0:3]
	ds_store_b128 v12, v[4:7] offset:176
	ds_store_b128 v12, v[8:11] offset:352
	v_add_f64 v[0:1], v[40:41], v[44:45]
	v_add_f64 v[4:5], v[16:17], v[40:41]
	v_add_f64 v[8:9], v[42:43], -v[46:47]
	v_add_f64 v[12:13], v[40:41], -v[44:45]
	s_delay_alu instid0(VALU_DEP_4) | instskip(SKIP_1) | instid1(VALU_DEP_1)
	v_fma_f64 v[6:7], v[0:1], -0.5, v[16:17]
	v_add_f64 v[0:1], v[42:43], v[46:47]
	v_fma_f64 v[10:11], v[0:1], -0.5, v[18:19]
	v_add_f64 v[0:1], v[18:19], v[42:43]
	s_delay_alu instid0(VALU_DEP_1)
	v_add_f64 v[2:3], v[0:1], v[46:47]
	v_add_f64 v[0:1], v[4:5], v[44:45]
	v_fma_f64 v[4:5], v[8:9], s[0:1], v[6:7]
	v_fma_f64 v[8:9], v[8:9], s[2:3], v[6:7]
	v_fma_f64 v[6:7], v[12:13], s[2:3], v[10:11]
	v_fma_f64 v[10:11], v[12:13], s[0:1], v[10:11]
	scratch_load_b32 v12, off, off offset:632 ; 4-byte Folded Reload
	s_waitcnt vmcnt(0)
	ds_store_b128 v12, v[0:3]
	ds_store_b128 v12, v[4:7] offset:176
	ds_store_b128 v12, v[8:11] offset:352
	v_add_f64 v[0:1], v[48:49], v[52:53]
	v_add_f64 v[4:5], v[20:21], v[48:49]
	v_add_f64 v[8:9], v[50:51], -v[54:55]
	v_add_f64 v[12:13], v[48:49], -v[52:53]
	s_delay_alu instid0(VALU_DEP_4) | instskip(SKIP_1) | instid1(VALU_DEP_1)
	v_fma_f64 v[6:7], v[0:1], -0.5, v[20:21]
	v_add_f64 v[0:1], v[50:51], v[54:55]
	v_fma_f64 v[10:11], v[0:1], -0.5, v[22:23]
	v_add_f64 v[0:1], v[22:23], v[50:51]
	s_delay_alu instid0(VALU_DEP_1)
	;; [unrolled: 21-line block ×4, first 2 shown]
	v_add_f64 v[2:3], v[0:1], v[70:71]
	v_add_f64 v[0:1], v[4:5], v[68:69]
	v_fma_f64 v[4:5], v[8:9], s[0:1], v[6:7]
	v_fma_f64 v[8:9], v[8:9], s[2:3], v[6:7]
	;; [unrolled: 1-line block ×4, first 2 shown]
	scratch_load_b32 v12, off, off offset:588 ; 4-byte Folded Reload
	s_waitcnt vmcnt(0)
	ds_store_b128 v12, v[0:3]
	ds_store_b128 v12, v[4:7] offset:176
	ds_store_b128 v12, v[8:11] offset:352
	s_waitcnt lgkmcnt(0)
	s_barrier
	buffer_gl0_inv
	ds_load_b128 v[0:3], v170 offset:9504
	ds_load_b128 v[4:7], v170 offset:11088
	scratch_load_b128 v[14:17], off, off offset:332 ; 16-byte Folded Reload
	s_waitcnt vmcnt(0) lgkmcnt(1)
	v_mul_f64 v[8:9], v[16:17], v[2:3]
	s_delay_alu instid0(VALU_DEP_1) | instskip(SKIP_1) | instid1(VALU_DEP_1)
	v_fma_f64 v[12:13], v[14:15], v[0:1], v[8:9]
	v_mul_f64 v[0:1], v[16:17], v[0:1]
	v_fma_f64 v[14:15], v[14:15], v[2:3], -v[0:1]
	ds_load_b128 v[0:3], v170 offset:19008
	ds_load_b128 v[8:11], v170 offset:20592
	scratch_load_b128 v[18:21], off, off offset:380 ; 16-byte Folded Reload
	s_waitcnt vmcnt(0) lgkmcnt(1)
	v_mul_f64 v[16:17], v[20:21], v[2:3]
	s_delay_alu instid0(VALU_DEP_1)
	v_fma_f64 v[16:17], v[18:19], v[0:1], v[16:17]
	v_mul_f64 v[0:1], v[20:21], v[0:1]
	scratch_load_b128 v[20:23], off, off offset:444 ; 16-byte Folded Reload
	v_fma_f64 v[18:19], v[18:19], v[2:3], -v[0:1]
	s_waitcnt vmcnt(0)
	v_mul_f64 v[0:1], v[22:23], v[6:7]
	s_delay_alu instid0(VALU_DEP_1)
	v_fma_f64 v[32:33], v[20:21], v[4:5], v[0:1]
	v_mul_f64 v[0:1], v[22:23], v[4:5]
	scratch_load_b128 v[2:5], off, off offset:428 ; 16-byte Folded Reload
	v_fma_f64 v[34:35], v[20:21], v[6:7], -v[0:1]
	s_waitcnt vmcnt(0) lgkmcnt(0)
	v_mul_f64 v[0:1], v[4:5], v[10:11]
	s_delay_alu instid0(VALU_DEP_1) | instskip(SKIP_1) | instid1(VALU_DEP_1)
	v_fma_f64 v[36:37], v[2:3], v[8:9], v[0:1]
	v_mul_f64 v[0:1], v[4:5], v[8:9]
	v_fma_f64 v[38:39], v[2:3], v[10:11], -v[0:1]
	ds_load_b128 v[0:3], v170 offset:12672
	ds_load_b128 v[4:7], v170 offset:14256
	scratch_load_b128 v[20:23], off, off offset:412 ; 16-byte Folded Reload
	s_waitcnt vmcnt(0) lgkmcnt(1)
	v_mul_f64 v[8:9], v[22:23], v[2:3]
	s_delay_alu instid0(VALU_DEP_1) | instskip(SKIP_1) | instid1(VALU_DEP_1)
	v_fma_f64 v[40:41], v[20:21], v[0:1], v[8:9]
	v_mul_f64 v[0:1], v[22:23], v[0:1]
	v_fma_f64 v[42:43], v[20:21], v[2:3], -v[0:1]
	ds_load_b128 v[0:3], v170 offset:22176
	ds_load_b128 v[8:11], v170 offset:23760
	scratch_load_b128 v[22:25], off, off offset:396 ; 16-byte Folded Reload
	s_waitcnt vmcnt(0) lgkmcnt(1)
	v_mul_f64 v[20:21], v[24:25], v[2:3]
	s_delay_alu instid0(VALU_DEP_1) | instskip(SKIP_1) | instid1(VALU_DEP_1)
	v_fma_f64 v[44:45], v[22:23], v[0:1], v[20:21]
	v_mul_f64 v[0:1], v[24:25], v[0:1]
	v_fma_f64 v[46:47], v[22:23], v[2:3], -v[0:1]
	scratch_load_b128 v[20:23], off, off offset:492 ; 16-byte Folded Reload
	s_waitcnt vmcnt(0)
	v_mul_f64 v[0:1], v[22:23], v[6:7]
	s_delay_alu instid0(VALU_DEP_1)
	v_fma_f64 v[48:49], v[20:21], v[4:5], v[0:1]
	v_mul_f64 v[0:1], v[22:23], v[4:5]
	scratch_load_b128 v[2:5], off, off offset:460 ; 16-byte Folded Reload
	v_fma_f64 v[50:51], v[20:21], v[6:7], -v[0:1]
	s_waitcnt vmcnt(0) lgkmcnt(0)
	v_mul_f64 v[0:1], v[4:5], v[10:11]
	s_delay_alu instid0(VALU_DEP_1) | instskip(SKIP_1) | instid1(VALU_DEP_1)
	v_fma_f64 v[52:53], v[2:3], v[8:9], v[0:1]
	v_mul_f64 v[0:1], v[4:5], v[8:9]
	v_fma_f64 v[54:55], v[2:3], v[10:11], -v[0:1]
	ds_load_b128 v[0:3], v170 offset:15840
	ds_load_b128 v[4:7], v170 offset:17424
	scratch_load_b128 v[20:23], off, off offset:476 ; 16-byte Folded Reload
	s_waitcnt vmcnt(0) lgkmcnt(1)
	v_mul_f64 v[8:9], v[22:23], v[2:3]
	s_delay_alu instid0(VALU_DEP_1) | instskip(SKIP_1) | instid1(VALU_DEP_1)
	v_fma_f64 v[56:57], v[20:21], v[0:1], v[8:9]
	v_mul_f64 v[0:1], v[22:23], v[0:1]
	v_fma_f64 v[58:59], v[20:21], v[2:3], -v[0:1]
	ds_load_b128 v[0:3], v170 offset:25344
	ds_load_b128 v[8:11], v170 offset:26928
	scratch_load_b128 v[22:25], off, off offset:316 ; 16-byte Folded Reload
	s_waitcnt vmcnt(0) lgkmcnt(1)
	v_mul_f64 v[20:21], v[24:25], v[2:3]
	s_delay_alu instid0(VALU_DEP_1) | instskip(SKIP_1) | instid1(VALU_DEP_1)
	v_fma_f64 v[60:61], v[22:23], v[0:1], v[20:21]
	v_mul_f64 v[0:1], v[24:25], v[0:1]
	v_fma_f64 v[62:63], v[22:23], v[2:3], -v[0:1]
	scratch_load_b128 v[20:23], off, off offset:364 ; 16-byte Folded Reload
	s_waitcnt vmcnt(0)
	v_mul_f64 v[0:1], v[22:23], v[6:7]
	s_delay_alu instid0(VALU_DEP_1)
	v_fma_f64 v[64:65], v[20:21], v[4:5], v[0:1]
	v_mul_f64 v[0:1], v[22:23], v[4:5]
	scratch_load_b128 v[2:5], off, off offset:348 ; 16-byte Folded Reload
	v_fma_f64 v[66:67], v[20:21], v[6:7], -v[0:1]
	s_waitcnt vmcnt(0) lgkmcnt(0)
	v_mul_f64 v[0:1], v[4:5], v[10:11]
	s_delay_alu instid0(VALU_DEP_1) | instskip(SKIP_2) | instid1(VALU_DEP_2)
	v_fma_f64 v[68:69], v[2:3], v[8:9], v[0:1]
	v_mul_f64 v[0:1], v[4:5], v[8:9]
	v_add_f64 v[8:9], v[12:13], v[16:17]
	v_fma_f64 v[70:71], v[2:3], v[10:11], -v[0:1]
	ds_load_b128 v[0:3], v170
	ds_load_b128 v[4:7], v170 offset:1584
	s_waitcnt lgkmcnt(1)
	v_fma_f64 v[10:11], v[8:9], -0.5, v[0:1]
	v_add_f64 v[8:9], v[14:15], v[18:19]
	v_add_f64 v[0:1], v[0:1], v[12:13]
	s_delay_alu instid0(VALU_DEP_2) | instskip(SKIP_2) | instid1(VALU_DEP_4)
	v_fma_f64 v[20:21], v[8:9], -0.5, v[2:3]
	v_add_f64 v[2:3], v[2:3], v[14:15]
	v_add_f64 v[14:15], v[14:15], -v[18:19]
	v_add_f64 v[0:1], v[0:1], v[16:17]
	v_add_f64 v[16:17], v[12:13], -v[16:17]
	s_delay_alu instid0(VALU_DEP_4) | instskip(NEXT) | instid1(VALU_DEP_4)
	v_add_f64 v[2:3], v[2:3], v[18:19]
	v_fma_f64 v[8:9], v[14:15], s[0:1], v[10:11]
	v_fma_f64 v[12:13], v[14:15], s[2:3], v[10:11]
	s_delay_alu instid0(VALU_DEP_4)
	v_fma_f64 v[10:11], v[16:17], s[2:3], v[20:21]
	v_fma_f64 v[14:15], v[16:17], s[0:1], v[20:21]
	ds_load_b128 v[16:19], v170 offset:3168
	ds_load_b128 v[20:23], v170 offset:4752
	ds_load_b128 v[24:27], v170 offset:6336
	ds_load_b128 v[28:31], v170 offset:7920
	s_waitcnt lgkmcnt(0)
	s_barrier
	buffer_gl0_inv
	scratch_load_b32 v72, off, off offset:776 ; 4-byte Folded Reload
	s_waitcnt vmcnt(0)
	ds_store_b128 v72, v[0:3]
	ds_store_b128 v72, v[8:11] offset:528
	ds_store_b128 v72, v[12:15] offset:1056
	v_add_f64 v[0:1], v[32:33], v[36:37]
	v_add_f64 v[12:13], v[32:33], -v[36:37]
	s_delay_alu instid0(VALU_DEP_2) | instskip(SKIP_2) | instid1(VALU_DEP_2)
	v_fma_f64 v[8:9], v[0:1], -0.5, v[4:5]
	v_add_f64 v[0:1], v[34:35], v[38:39]
	v_add_f64 v[4:5], v[4:5], v[32:33]
	v_fma_f64 v[10:11], v[0:1], -0.5, v[6:7]
	v_add_f64 v[0:1], v[6:7], v[34:35]
	v_add_f64 v[6:7], v[34:35], -v[38:39]
	s_delay_alu instid0(VALU_DEP_2) | instskip(SKIP_1) | instid1(VALU_DEP_3)
	v_add_f64 v[2:3], v[0:1], v[38:39]
	v_add_f64 v[0:1], v[4:5], v[36:37]
	v_fma_f64 v[4:5], v[6:7], s[0:1], v[8:9]
	v_fma_f64 v[8:9], v[6:7], s[2:3], v[8:9]
	v_fma_f64 v[6:7], v[12:13], s[2:3], v[10:11]
	v_fma_f64 v[10:11], v[12:13], s[0:1], v[10:11]
	scratch_load_b32 v12, off, off offset:772 ; 4-byte Folded Reload
	s_waitcnt vmcnt(0)
	ds_store_b128 v12, v[0:3]
	ds_store_b128 v12, v[4:7] offset:528
	ds_store_b128 v12, v[8:11] offset:1056
	v_add_f64 v[0:1], v[40:41], v[44:45]
	v_add_f64 v[4:5], v[16:17], v[40:41]
	v_add_f64 v[8:9], v[42:43], -v[46:47]
	v_add_f64 v[12:13], v[40:41], -v[44:45]
	s_delay_alu instid0(VALU_DEP_4) | instskip(SKIP_1) | instid1(VALU_DEP_1)
	v_fma_f64 v[6:7], v[0:1], -0.5, v[16:17]
	v_add_f64 v[0:1], v[42:43], v[46:47]
	v_fma_f64 v[10:11], v[0:1], -0.5, v[18:19]
	v_add_f64 v[0:1], v[18:19], v[42:43]
	s_delay_alu instid0(VALU_DEP_1)
	v_add_f64 v[2:3], v[0:1], v[46:47]
	v_add_f64 v[0:1], v[4:5], v[44:45]
	v_fma_f64 v[4:5], v[8:9], s[0:1], v[6:7]
	v_fma_f64 v[8:9], v[8:9], s[2:3], v[6:7]
	v_fma_f64 v[6:7], v[12:13], s[2:3], v[10:11]
	v_fma_f64 v[10:11], v[12:13], s[0:1], v[10:11]
	scratch_load_b32 v12, off, off offset:768 ; 4-byte Folded Reload
	s_waitcnt vmcnt(0)
	ds_store_b128 v12, v[0:3]
	ds_store_b128 v12, v[4:7] offset:528
	ds_store_b128 v12, v[8:11] offset:1056
	v_add_f64 v[0:1], v[48:49], v[52:53]
	v_add_f64 v[4:5], v[20:21], v[48:49]
	v_add_f64 v[8:9], v[50:51], -v[54:55]
	v_add_f64 v[12:13], v[48:49], -v[52:53]
	s_delay_alu instid0(VALU_DEP_4) | instskip(SKIP_1) | instid1(VALU_DEP_1)
	v_fma_f64 v[6:7], v[0:1], -0.5, v[20:21]
	v_add_f64 v[0:1], v[50:51], v[54:55]
	v_fma_f64 v[10:11], v[0:1], -0.5, v[22:23]
	v_add_f64 v[0:1], v[22:23], v[50:51]
	s_delay_alu instid0(VALU_DEP_1)
	;; [unrolled: 21-line block ×4, first 2 shown]
	v_add_f64 v[2:3], v[0:1], v[70:71]
	v_add_f64 v[0:1], v[4:5], v[68:69]
	v_fma_f64 v[4:5], v[8:9], s[0:1], v[6:7]
	v_fma_f64 v[8:9], v[8:9], s[2:3], v[6:7]
	;; [unrolled: 1-line block ×4, first 2 shown]
	scratch_load_b32 v12, off, off offset:756 ; 4-byte Folded Reload
	s_waitcnt vmcnt(0)
	ds_store_b128 v12, v[0:3]
	ds_store_b128 v12, v[4:7] offset:528
	ds_store_b128 v12, v[8:11] offset:1056
	s_waitcnt lgkmcnt(0)
	s_barrier
	buffer_gl0_inv
	ds_load_b128 v[0:3], v170 offset:9504
	ds_load_b128 v[4:7], v170 offset:11088
	s_waitcnt lgkmcnt(1)
	v_mul_f64 v[8:9], v[142:143], v[2:3]
	s_delay_alu instid0(VALU_DEP_1) | instskip(SKIP_1) | instid1(VALU_DEP_1)
	v_fma_f64 v[12:13], v[140:141], v[0:1], v[8:9]
	v_mul_f64 v[0:1], v[142:143], v[0:1]
	v_fma_f64 v[14:15], v[140:141], v[2:3], -v[0:1]
	s_waitcnt lgkmcnt(0)
	v_mul_f64 v[0:1], v[142:143], v[6:7]
	s_delay_alu instid0(VALU_DEP_1) | instskip(SKIP_1) | instid1(VALU_DEP_1)
	v_fma_f64 v[16:17], v[140:141], v[4:5], v[0:1]
	v_mul_f64 v[0:1], v[142:143], v[4:5]
	v_fma_f64 v[18:19], v[140:141], v[6:7], -v[0:1]
	ds_load_b128 v[0:3], v170 offset:19008
	ds_load_b128 v[4:7], v170 offset:20592
	s_waitcnt lgkmcnt(1)
	v_mul_f64 v[8:9], v[162:163], v[2:3]
	s_delay_alu instid0(VALU_DEP_1) | instskip(SKIP_1) | instid1(VALU_DEP_1)
	v_fma_f64 v[20:21], v[160:161], v[0:1], v[8:9]
	v_mul_f64 v[0:1], v[162:163], v[0:1]
	v_fma_f64 v[22:23], v[160:161], v[2:3], -v[0:1]
	s_waitcnt lgkmcnt(0)
	v_mul_f64 v[0:1], v[162:163], v[6:7]
	s_delay_alu instid0(VALU_DEP_1) | instskip(SKIP_1) | instid1(VALU_DEP_1)
	v_fma_f64 v[24:25], v[160:161], v[4:5], v[0:1]
	v_mul_f64 v[0:1], v[162:163], v[4:5]
	v_fma_f64 v[26:27], v[160:161], v[6:7], -v[0:1]
	ds_load_b128 v[0:3], v170 offset:12672
	ds_load_b128 v[4:7], v170 offset:14256
	scratch_load_b128 v[28:31], off, off offset:724 ; 16-byte Folded Reload
	s_waitcnt vmcnt(0) lgkmcnt(1)
	v_mul_f64 v[8:9], v[30:31], v[2:3]
	s_delay_alu instid0(VALU_DEP_1) | instskip(SKIP_1) | instid1(VALU_DEP_1)
	v_fma_f64 v[32:33], v[28:29], v[0:1], v[8:9]
	v_mul_f64 v[0:1], v[30:31], v[0:1]
	v_fma_f64 v[34:35], v[28:29], v[2:3], -v[0:1]
	ds_load_b128 v[0:3], v170 offset:22176
	ds_load_b128 v[8:11], v170 offset:23760
	scratch_load_b128 v[38:41], off, off offset:708 ; 16-byte Folded Reload
	s_waitcnt vmcnt(0) lgkmcnt(1)
	v_mul_f64 v[28:29], v[40:41], v[2:3]
	s_delay_alu instid0(VALU_DEP_1) | instskip(SKIP_1) | instid1(VALU_DEP_2)
	v_fma_f64 v[36:37], v[38:39], v[0:1], v[28:29]
	v_mul_f64 v[0:1], v[40:41], v[0:1]
	v_add_f64 v[40:41], v[32:33], v[36:37]
	s_delay_alu instid0(VALU_DEP_2) | instskip(SKIP_1) | instid1(VALU_DEP_2)
	v_fma_f64 v[38:39], v[38:39], v[2:3], -v[0:1]
	v_mul_f64 v[0:1], v[186:187], v[6:7]
	v_add_f64 v[42:43], v[34:35], v[38:39]
	s_delay_alu instid0(VALU_DEP_2) | instskip(SKIP_2) | instid1(VALU_DEP_2)
	v_fma_f64 v[48:49], v[184:185], v[4:5], v[0:1]
	v_mul_f64 v[0:1], v[186:187], v[4:5]
	v_add_f64 v[44:45], v[34:35], -v[38:39]
	v_fma_f64 v[50:51], v[184:185], v[6:7], -v[0:1]
	s_waitcnt lgkmcnt(0)
	v_mul_f64 v[0:1], v[178:179], v[10:11]
	s_delay_alu instid0(VALU_DEP_1) | instskip(SKIP_1) | instid1(VALU_DEP_1)
	v_fma_f64 v[52:53], v[176:177], v[8:9], v[0:1]
	v_mul_f64 v[0:1], v[178:179], v[8:9]
	v_fma_f64 v[54:55], v[176:177], v[10:11], -v[0:1]
	ds_load_b128 v[0:3], v170 offset:15840
	ds_load_b128 v[4:7], v170 offset:17424
	s_waitcnt lgkmcnt(1)
	v_mul_f64 v[8:9], v[182:183], v[2:3]
	s_delay_alu instid0(VALU_DEP_1) | instskip(SKIP_1) | instid1(VALU_DEP_1)
	v_fma_f64 v[56:57], v[180:181], v[0:1], v[8:9]
	v_mul_f64 v[0:1], v[182:183], v[0:1]
	v_fma_f64 v[58:59], v[180:181], v[2:3], -v[0:1]
	ds_load_b128 v[0:3], v170 offset:25344
	ds_load_b128 v[8:11], v170 offset:26928
	s_waitcnt lgkmcnt(1)
	v_mul_f64 v[28:29], v[190:191], v[2:3]
	s_delay_alu instid0(VALU_DEP_1) | instskip(SKIP_1) | instid1(VALU_DEP_1)
	v_fma_f64 v[60:61], v[188:189], v[0:1], v[28:29]
	v_mul_f64 v[0:1], v[190:191], v[0:1]
	v_fma_f64 v[62:63], v[188:189], v[2:3], -v[0:1]
	v_mul_f64 v[0:1], v[222:223], v[6:7]
	s_delay_alu instid0(VALU_DEP_1) | instskip(SKIP_1) | instid1(VALU_DEP_1)
	v_fma_f64 v[64:65], v[220:221], v[4:5], v[0:1]
	v_mul_f64 v[0:1], v[222:223], v[4:5]
	v_fma_f64 v[66:67], v[220:221], v[6:7], -v[0:1]
	s_waitcnt lgkmcnt(0)
	v_mul_f64 v[0:1], v[218:219], v[10:11]
	s_delay_alu instid0(VALU_DEP_1) | instskip(SKIP_2) | instid1(VALU_DEP_2)
	v_fma_f64 v[68:69], v[216:217], v[8:9], v[0:1]
	v_mul_f64 v[0:1], v[218:219], v[8:9]
	v_add_f64 v[8:9], v[12:13], v[20:21]
	v_fma_f64 v[70:71], v[216:217], v[10:11], -v[0:1]
	ds_load_b128 v[0:3], v170
	ds_load_b128 v[4:7], v170 offset:1584
	s_waitcnt lgkmcnt(1)
	v_fma_f64 v[10:11], v[8:9], -0.5, v[0:1]
	v_add_f64 v[8:9], v[14:15], v[22:23]
	v_add_f64 v[0:1], v[0:1], v[12:13]
	s_delay_alu instid0(VALU_DEP_2) | instskip(SKIP_2) | instid1(VALU_DEP_4)
	v_fma_f64 v[28:29], v[8:9], -0.5, v[2:3]
	v_add_f64 v[2:3], v[2:3], v[14:15]
	v_add_f64 v[14:15], v[14:15], -v[22:23]
	v_add_f64 v[0:1], v[0:1], v[20:21]
	v_add_f64 v[20:21], v[12:13], -v[20:21]
	s_delay_alu instid0(VALU_DEP_4) | instskip(NEXT) | instid1(VALU_DEP_4)
	v_add_f64 v[2:3], v[2:3], v[22:23]
	v_fma_f64 v[8:9], v[14:15], s[0:1], v[10:11]
	v_fma_f64 v[12:13], v[14:15], s[2:3], v[10:11]
	s_delay_alu instid0(VALU_DEP_4) | instskip(SKIP_4) | instid1(VALU_DEP_2)
	v_fma_f64 v[10:11], v[20:21], s[2:3], v[28:29]
	v_fma_f64 v[14:15], v[20:21], s[0:1], v[28:29]
	v_add_f64 v[20:21], v[16:17], v[24:25]
	v_add_f64 v[22:23], v[18:19], v[26:27]
	s_waitcnt lgkmcnt(0)
	v_fma_f64 v[20:21], v[20:21], -0.5, v[4:5]
	v_add_f64 v[4:5], v[4:5], v[16:17]
	s_delay_alu instid0(VALU_DEP_3) | instskip(SKIP_2) | instid1(VALU_DEP_4)
	v_fma_f64 v[22:23], v[22:23], -0.5, v[6:7]
	v_add_f64 v[6:7], v[6:7], v[18:19]
	v_add_f64 v[18:19], v[18:19], -v[26:27]
	v_add_f64 v[4:5], v[4:5], v[24:25]
	v_add_f64 v[24:25], v[16:17], -v[24:25]
	s_delay_alu instid0(VALU_DEP_4) | instskip(NEXT) | instid1(VALU_DEP_4)
	v_add_f64 v[6:7], v[6:7], v[26:27]
	v_fma_f64 v[16:17], v[18:19], s[0:1], v[20:21]
	v_fma_f64 v[20:21], v[18:19], s[2:3], v[20:21]
	s_delay_alu instid0(VALU_DEP_4)
	v_fma_f64 v[18:19], v[24:25], s[2:3], v[22:23]
	v_fma_f64 v[22:23], v[24:25], s[0:1], v[22:23]
	ds_load_b128 v[24:27], v170 offset:3168
	ds_load_b128 v[28:31], v170 offset:4752
	s_waitcnt lgkmcnt(1)
	v_fma_f64 v[42:43], v[42:43], -0.5, v[26:27]
	v_add_f64 v[26:27], v[26:27], v[34:35]
	v_fma_f64 v[40:41], v[40:41], -0.5, v[24:25]
	v_add_f64 v[24:25], v[24:25], v[32:33]
	s_delay_alu instid0(VALU_DEP_3) | instskip(SKIP_1) | instid1(VALU_DEP_3)
	v_add_f64 v[26:27], v[26:27], v[38:39]
	v_add_f64 v[38:39], v[32:33], -v[36:37]
	v_add_f64 v[24:25], v[24:25], v[36:37]
	v_fma_f64 v[32:33], v[44:45], s[0:1], v[40:41]
	v_fma_f64 v[36:37], v[44:45], s[2:3], v[40:41]
	s_delay_alu instid0(VALU_DEP_4)
	v_fma_f64 v[34:35], v[38:39], s[2:3], v[42:43]
	v_fma_f64 v[38:39], v[38:39], s[0:1], v[42:43]
	ds_load_b128 v[40:43], v170 offset:6336
	ds_load_b128 v[44:47], v170 offset:7920
	s_waitcnt lgkmcnt(0)
	s_barrier
	buffer_gl0_inv
	ds_store_b128 v170, v[0:3]
	ds_store_b128 v170, v[8:11] offset:1584
	ds_store_b128 v170, v[4:7] offset:4752
	;; [unrolled: 1-line block ×5, first 2 shown]
	scratch_load_b32 v6, off, off offset:792 ; 4-byte Folded Reload
	v_add_f64 v[0:1], v[30:31], v[50:51]
	v_add_f64 v[4:5], v[28:29], v[48:49]
	v_add_f64 v[8:9], v[50:51], -v[54:55]
	v_add_f64 v[12:13], v[48:49], -v[52:53]
	;; [unrolled: 1-line block ×3, first 2 shown]
	s_waitcnt vmcnt(0)
	ds_store_b128 v6, v[24:27] offset:9504
	ds_store_b128 v6, v[32:35] offset:11088
	v_add_f64 v[2:3], v[0:1], v[54:55]
	v_add_f64 v[0:1], v[4:5], v[52:53]
	;; [unrolled: 1-line block ×3, first 2 shown]
	ds_store_b128 v6, v[36:39] offset:12672
	v_fma_f64 v[6:7], v[4:5], -0.5, v[28:29]
	v_add_f64 v[4:5], v[50:51], v[54:55]
	s_delay_alu instid0(VALU_DEP_1) | instskip(NEXT) | instid1(VALU_DEP_3)
	v_fma_f64 v[10:11], v[4:5], -0.5, v[30:31]
	v_fma_f64 v[4:5], v[8:9], s[0:1], v[6:7]
	v_fma_f64 v[8:9], v[8:9], s[2:3], v[6:7]
	s_delay_alu instid0(VALU_DEP_3)
	v_fma_f64 v[6:7], v[12:13], s[2:3], v[10:11]
	v_fma_f64 v[10:11], v[12:13], s[0:1], v[10:11]
	scratch_load_b32 v12, off, off offset:788 ; 4-byte Folded Reload
	s_waitcnt vmcnt(0)
	ds_store_b128 v12, v[0:3] offset:14256
	ds_store_b128 v12, v[4:7] offset:15840
	;; [unrolled: 1-line block ×3, first 2 shown]
	v_add_f64 v[0:1], v[56:57], v[60:61]
	v_add_f64 v[4:5], v[40:41], v[56:57]
	v_add_f64 v[12:13], v[58:59], -v[62:63]
	s_delay_alu instid0(VALU_DEP_3) | instskip(SKIP_1) | instid1(VALU_DEP_1)
	v_fma_f64 v[8:9], v[0:1], -0.5, v[40:41]
	v_add_f64 v[0:1], v[58:59], v[62:63]
	v_fma_f64 v[10:11], v[0:1], -0.5, v[42:43]
	v_add_f64 v[0:1], v[42:43], v[58:59]
	s_delay_alu instid0(VALU_DEP_2) | instskip(NEXT) | instid1(VALU_DEP_2)
	v_fma_f64 v[6:7], v[14:15], s[2:3], v[10:11]
	v_add_f64 v[2:3], v[0:1], v[62:63]
	v_add_f64 v[0:1], v[4:5], v[60:61]
	v_fma_f64 v[4:5], v[12:13], s[0:1], v[8:9]
	v_fma_f64 v[8:9], v[12:13], s[2:3], v[8:9]
	scratch_load_b32 v12, off, off offset:784 ; 4-byte Folded Reload
	v_fma_f64 v[10:11], v[14:15], s[0:1], v[10:11]
	s_waitcnt vmcnt(0)
	ds_store_b128 v12, v[0:3] offset:19008
	ds_store_b128 v12, v[4:7] offset:20592
	v_add_f64 v[0:1], v[46:47], v[66:67]
	v_add_f64 v[4:5], v[44:45], v[64:65]
	ds_store_b128 v12, v[8:11] offset:22176
	v_add_f64 v[8:9], v[66:67], -v[70:71]
	v_add_f64 v[12:13], v[64:65], -v[68:69]
	v_add_f64 v[2:3], v[0:1], v[70:71]
	v_add_f64 v[0:1], v[4:5], v[68:69]
	;; [unrolled: 1-line block ×3, first 2 shown]
	s_delay_alu instid0(VALU_DEP_1) | instskip(SKIP_1) | instid1(VALU_DEP_1)
	v_fma_f64 v[6:7], v[4:5], -0.5, v[44:45]
	v_add_f64 v[4:5], v[66:67], v[70:71]
	v_fma_f64 v[10:11], v[4:5], -0.5, v[46:47]
	s_delay_alu instid0(VALU_DEP_3) | instskip(SKIP_1) | instid1(VALU_DEP_3)
	v_fma_f64 v[4:5], v[8:9], s[0:1], v[6:7]
	v_fma_f64 v[8:9], v[8:9], s[2:3], v[6:7]
	;; [unrolled: 1-line block ×4, first 2 shown]
	scratch_load_b32 v12, off, off offset:780 ; 4-byte Folded Reload
	s_waitcnt vmcnt(0)
	ds_store_b128 v12, v[0:3] offset:23760
	ds_store_b128 v12, v[4:7] offset:25344
	;; [unrolled: 1-line block ×3, first 2 shown]
	s_waitcnt lgkmcnt(0)
	s_barrier
	buffer_gl0_inv
	ds_load_b128 v[0:3], v170 offset:9504
	ds_load_b128 v[4:7], v170 offset:11088
	s_waitcnt lgkmcnt(1)
	v_mul_f64 v[8:9], v[202:203], v[2:3]
	s_delay_alu instid0(VALU_DEP_1) | instskip(SKIP_1) | instid1(VALU_DEP_1)
	v_fma_f64 v[20:21], v[200:201], v[0:1], v[8:9]
	v_mul_f64 v[0:1], v[202:203], v[0:1]
	v_fma_f64 v[22:23], v[200:201], v[2:3], -v[0:1]
	ds_load_b128 v[0:3], v170 offset:14256
	ds_load_b128 v[8:11], v170 offset:12672
	s_waitcnt lgkmcnt(1)
	v_mul_f64 v[12:13], v[202:203], v[2:3]
	s_delay_alu instid0(VALU_DEP_1) | instskip(SKIP_1) | instid1(VALU_DEP_1)
	v_fma_f64 v[40:41], v[200:201], v[0:1], v[12:13]
	v_mul_f64 v[0:1], v[202:203], v[0:1]
	v_fma_f64 v[42:43], v[200:201], v[2:3], -v[0:1]
	;; [unrolled: 8-line block ×4, first 2 shown]
	v_mul_f64 v[0:1], v[214:215], v[6:7]
	s_delay_alu instid0(VALU_DEP_1) | instskip(SKIP_1) | instid1(VALU_DEP_1)
	v_fma_f64 v[28:29], v[212:213], v[4:5], v[0:1]
	v_mul_f64 v[0:1], v[214:215], v[4:5]
	v_fma_f64 v[30:31], v[212:213], v[6:7], -v[0:1]
	ds_load_b128 v[0:3], v170 offset:15840
	ds_load_b128 v[4:7], v170 offset:17424
	s_waitcnt lgkmcnt(1)
	v_mul_f64 v[32:33], v[214:215], v[2:3]
	s_delay_alu instid0(VALU_DEP_1) | instskip(SKIP_1) | instid1(VALU_DEP_1)
	v_fma_f64 v[56:57], v[212:213], v[0:1], v[32:33]
	v_mul_f64 v[0:1], v[214:215], v[0:1]
	v_fma_f64 v[58:59], v[212:213], v[2:3], -v[0:1]
	v_mul_f64 v[0:1], v[206:207], v[14:15]
	s_delay_alu instid0(VALU_DEP_1) | instskip(SKIP_1) | instid1(VALU_DEP_1)
	v_fma_f64 v[32:33], v[204:205], v[12:13], v[0:1]
	v_mul_f64 v[0:1], v[206:207], v[12:13]
	v_fma_f64 v[34:35], v[204:205], v[14:15], -v[0:1]
	ds_load_b128 v[0:3], v170 offset:25344
	ds_load_b128 v[12:15], v170 offset:26928
	s_waitcnt lgkmcnt(1)
	v_mul_f64 v[36:37], v[206:207], v[2:3]
	s_delay_alu instid0(VALU_DEP_1) | instskip(SKIP_1) | instid1(VALU_DEP_2)
	v_fma_f64 v[60:61], v[204:205], v[0:1], v[36:37]
	v_mul_f64 v[0:1], v[206:207], v[0:1]
	v_add_f64 v[72:73], v[56:57], v[60:61]
	s_delay_alu instid0(VALU_DEP_2) | instskip(SKIP_1) | instid1(VALU_DEP_2)
	v_fma_f64 v[62:63], v[204:205], v[2:3], -v[0:1]
	v_mul_f64 v[0:1], v[226:227], v[10:11]
	v_add_f64 v[74:75], v[58:59], v[62:63]
	s_delay_alu instid0(VALU_DEP_2) | instskip(SKIP_2) | instid1(VALU_DEP_2)
	v_fma_f64 v[36:37], v[224:225], v[8:9], v[0:1]
	v_mul_f64 v[0:1], v[226:227], v[8:9]
	v_add_f64 v[8:9], v[20:21], v[24:25]
	v_fma_f64 v[38:39], v[224:225], v[10:11], -v[0:1]
	v_mul_f64 v[0:1], v[226:227], v[6:7]
	s_delay_alu instid0(VALU_DEP_1) | instskip(SKIP_1) | instid1(VALU_DEP_1)
	v_fma_f64 v[64:65], v[224:225], v[4:5], v[0:1]
	v_mul_f64 v[0:1], v[226:227], v[4:5]
	v_fma_f64 v[66:67], v[224:225], v[6:7], -v[0:1]
	v_mul_f64 v[0:1], v[210:211], v[18:19]
	s_delay_alu instid0(VALU_DEP_1) | instskip(SKIP_2) | instid1(VALU_DEP_2)
	v_fma_f64 v[48:49], v[208:209], v[16:17], v[0:1]
	v_mul_f64 v[0:1], v[210:211], v[16:17]
	v_add_f64 v[16:17], v[20:21], -v[24:25]
	v_fma_f64 v[50:51], v[208:209], v[18:19], -v[0:1]
	s_waitcnt lgkmcnt(0)
	v_mul_f64 v[0:1], v[210:211], v[14:15]
	s_delay_alu instid0(VALU_DEP_1) | instskip(SKIP_2) | instid1(VALU_DEP_2)
	v_fma_f64 v[68:69], v[208:209], v[12:13], v[0:1]
	v_mul_f64 v[0:1], v[210:211], v[12:13]
	v_add_f64 v[12:13], v[22:23], -v[26:27]
	v_fma_f64 v[70:71], v[208:209], v[14:15], -v[0:1]
	ds_load_b128 v[0:3], v170
	ds_load_b128 v[4:7], v170 offset:1584
	s_waitcnt lgkmcnt(1)
	v_fma_f64 v[10:11], v[8:9], -0.5, v[0:1]
	v_add_f64 v[8:9], v[22:23], v[26:27]
	v_add_f64 v[0:1], v[0:1], v[20:21]
	v_add_f64 v[20:21], v[30:31], -v[34:35]
	v_add_f64 v[76:77], v[66:67], -v[70:71]
	s_delay_alu instid0(VALU_DEP_4)
	v_fma_f64 v[14:15], v[8:9], -0.5, v[2:3]
	v_fma_f64 v[8:9], v[12:13], s[0:1], v[10:11]
	v_fma_f64 v[12:13], v[12:13], s[2:3], v[10:11]
	v_add_f64 v[2:3], v[2:3], v[22:23]
	v_add_f64 v[0:1], v[0:1], v[24:25]
	v_add_f64 v[24:25], v[28:29], -v[32:33]
	v_fma_f64 v[10:11], v[16:17], s[2:3], v[14:15]
	v_fma_f64 v[14:15], v[16:17], s[0:1], v[14:15]
	v_add_f64 v[16:17], v[28:29], v[32:33]
	v_add_f64 v[2:3], v[2:3], v[26:27]
	s_waitcnt lgkmcnt(0)
	s_delay_alu instid0(VALU_DEP_2) | instskip(SKIP_2) | instid1(VALU_DEP_2)
	v_fma_f64 v[18:19], v[16:17], -0.5, v[4:5]
	v_add_f64 v[16:17], v[30:31], v[34:35]
	v_add_f64 v[4:5], v[4:5], v[28:29]
	v_fma_f64 v[22:23], v[16:17], -0.5, v[6:7]
	v_add_f64 v[6:7], v[6:7], v[30:31]
	s_delay_alu instid0(VALU_DEP_3)
	v_add_f64 v[4:5], v[4:5], v[32:33]
	v_add_f64 v[32:33], v[36:37], v[48:49]
	v_fma_f64 v[16:17], v[20:21], s[0:1], v[18:19]
	v_fma_f64 v[20:21], v[20:21], s[2:3], v[18:19]
	;; [unrolled: 1-line block ×4, first 2 shown]
	ds_load_b128 v[24:27], v170 offset:3168
	ds_load_b128 v[28:31], v170 offset:4752
	v_add_f64 v[6:7], v[6:7], v[34:35]
	s_waitcnt lgkmcnt(1)
	v_fma_f64 v[34:35], v[32:33], -0.5, v[24:25]
	v_add_f64 v[32:33], v[38:39], v[50:51]
	v_add_f64 v[24:25], v[24:25], v[36:37]
	s_delay_alu instid0(VALU_DEP_2) | instskip(SKIP_2) | instid1(VALU_DEP_4)
	v_fma_f64 v[52:53], v[32:33], -0.5, v[26:27]
	v_add_f64 v[26:27], v[26:27], v[38:39]
	v_add_f64 v[38:39], v[38:39], -v[50:51]
	v_add_f64 v[24:25], v[24:25], v[48:49]
	v_add_f64 v[48:49], v[36:37], -v[48:49]
	s_delay_alu instid0(VALU_DEP_4)
	v_add_f64 v[26:27], v[26:27], v[50:51]
	v_add_f64 v[50:51], v[42:43], v[46:47]
	v_fma_f64 v[32:33], v[38:39], s[0:1], v[34:35]
	v_fma_f64 v[36:37], v[38:39], s[2:3], v[34:35]
	;; [unrolled: 1-line block ×4, first 2 shown]
	v_add_f64 v[48:49], v[40:41], v[44:45]
	s_waitcnt lgkmcnt(0)
	v_fma_f64 v[50:51], v[50:51], -0.5, v[30:31]
	v_add_f64 v[30:31], v[30:31], v[42:43]
	v_add_f64 v[42:43], v[42:43], -v[46:47]
	s_delay_alu instid0(VALU_DEP_4) | instskip(SKIP_1) | instid1(VALU_DEP_4)
	v_fma_f64 v[48:49], v[48:49], -0.5, v[28:29]
	v_add_f64 v[28:29], v[28:29], v[40:41]
	v_add_f64 v[30:31], v[30:31], v[46:47]
	v_add_f64 v[46:47], v[40:41], -v[44:45]
	s_delay_alu instid0(VALU_DEP_4) | instskip(NEXT) | instid1(VALU_DEP_4)
	v_fma_f64 v[40:41], v[42:43], s[0:1], v[48:49]
	v_add_f64 v[28:29], v[28:29], v[44:45]
	v_fma_f64 v[44:45], v[42:43], s[2:3], v[48:49]
	s_delay_alu instid0(VALU_DEP_4)
	v_fma_f64 v[42:43], v[46:47], s[2:3], v[50:51]
	v_fma_f64 v[46:47], v[46:47], s[0:1], v[50:51]
	ds_load_b128 v[48:51], v170 offset:6336
	ds_load_b128 v[52:55], v170 offset:7920
	s_waitcnt lgkmcnt(0)
	s_barrier
	buffer_gl0_inv
	v_fma_f64 v[74:75], v[74:75], -0.5, v[50:51]
	v_add_f64 v[50:51], v[50:51], v[58:59]
	v_fma_f64 v[72:73], v[72:73], -0.5, v[48:49]
	v_add_f64 v[48:49], v[48:49], v[56:57]
	v_add_f64 v[58:59], v[58:59], -v[62:63]
	s_delay_alu instid0(VALU_DEP_4) | instskip(SKIP_1) | instid1(VALU_DEP_4)
	v_add_f64 v[50:51], v[50:51], v[62:63]
	v_add_f64 v[62:63], v[56:57], -v[60:61]
	v_add_f64 v[48:49], v[48:49], v[60:61]
	s_delay_alu instid0(VALU_DEP_4)
	v_fma_f64 v[56:57], v[58:59], s[0:1], v[72:73]
	v_fma_f64 v[60:61], v[58:59], s[2:3], v[72:73]
	v_add_f64 v[72:73], v[64:65], v[68:69]
	v_fma_f64 v[58:59], v[62:63], s[2:3], v[74:75]
	v_fma_f64 v[62:63], v[62:63], s[0:1], v[74:75]
	v_add_f64 v[74:75], v[66:67], v[70:71]
	s_delay_alu instid0(VALU_DEP_4) | instskip(SKIP_1) | instid1(VALU_DEP_3)
	v_fma_f64 v[72:73], v[72:73], -0.5, v[52:53]
	v_add_f64 v[52:53], v[52:53], v[64:65]
	v_fma_f64 v[74:75], v[74:75], -0.5, v[54:55]
	v_add_f64 v[54:55], v[54:55], v[66:67]
	s_delay_alu instid0(VALU_DEP_3) | instskip(NEXT) | instid1(VALU_DEP_2)
	v_add_f64 v[52:53], v[52:53], v[68:69]
	v_add_f64 v[54:55], v[54:55], v[70:71]
	v_add_f64 v[70:71], v[64:65], -v[68:69]
	v_fma_f64 v[64:65], v[76:77], s[0:1], v[72:73]
	v_fma_f64 v[68:69], v[76:77], s[2:3], v[72:73]
	s_delay_alu instid0(VALU_DEP_3)
	v_fma_f64 v[66:67], v[70:71], s[2:3], v[74:75]
	v_fma_f64 v[70:71], v[70:71], s[0:1], v[74:75]
	ds_store_b128 v170, v[0:3]
	ds_store_b128 v170, v[4:7] offset:1584
	ds_store_b128 v170, v[48:51] offset:15840
	;; [unrolled: 1-line block ×17, first 2 shown]
	s_waitcnt lgkmcnt(0)
	s_barrier
	buffer_gl0_inv
	ds_load_b128 v[0:3], v170 offset:14256
	ds_load_b128 v[4:7], v170 offset:12672
	scratch_load_b128 v[14:17], off, off offset:740 ; 16-byte Folded Reload
	s_mul_i32 s1, s5, 0xa2
	s_mul_hi_u32 s3, s4, 0xa2
	s_mul_i32 s2, s4, 0xa2
	s_add_i32 s3, s3, s1
	s_delay_alu instid0(SALU_CYCLE_1) | instskip(SKIP_2) | instid1(VALU_DEP_1)
	s_lshl_b64 s[2:3], s[2:3], 4
	s_waitcnt vmcnt(0) lgkmcnt(1)
	v_mul_f64 v[8:9], v[16:17], v[2:3]
	v_fma_f64 v[12:13], v[14:15], v[0:1], v[8:9]
	v_mul_f64 v[0:1], v[16:17], v[0:1]
	s_delay_alu instid0(VALU_DEP_1) | instskip(SKIP_4) | instid1(VALU_DEP_1)
	v_fma_f64 v[14:15], v[14:15], v[2:3], -v[0:1]
	ds_load_b128 v[0:3], v170 offset:15840
	ds_load_b128 v[8:11], v170 offset:17424
	s_waitcnt lgkmcnt(1)
	v_mul_f64 v[16:17], v[194:195], v[2:3]
	v_fma_f64 v[16:17], v[192:193], v[0:1], v[16:17]
	v_mul_f64 v[0:1], v[194:195], v[0:1]
	s_delay_alu instid0(VALU_DEP_1) | instskip(SKIP_2) | instid1(VALU_DEP_1)
	v_fma_f64 v[18:19], v[192:193], v[2:3], -v[0:1]
	s_waitcnt lgkmcnt(0)
	v_mul_f64 v[0:1], v[238:239], v[10:11]
	v_fma_f64 v[28:29], v[236:237], v[8:9], v[0:1]
	v_mul_f64 v[0:1], v[238:239], v[8:9]
	s_delay_alu instid0(VALU_DEP_1) | instskip(SKIP_4) | instid1(VALU_DEP_1)
	v_fma_f64 v[30:31], v[236:237], v[10:11], -v[0:1]
	ds_load_b128 v[0:3], v170 offset:19008
	ds_load_b128 v[8:11], v170 offset:20592
	s_waitcnt lgkmcnt(1)
	v_mul_f64 v[20:21], v[230:231], v[2:3]
	v_fma_f64 v[32:33], v[228:229], v[0:1], v[20:21]
	v_mul_f64 v[0:1], v[230:231], v[0:1]
	s_delay_alu instid0(VALU_DEP_1) | instskip(SKIP_2) | instid1(VALU_DEP_1)
	v_fma_f64 v[34:35], v[228:229], v[2:3], -v[0:1]
	s_waitcnt lgkmcnt(0)
	;; [unrolled: 14-line block ×4, first 2 shown]
	v_mul_f64 v[0:1], v[254:255], v[10:11]
	v_fma_f64 v[68:69], v[252:253], v[8:9], v[0:1]
	v_mul_f64 v[0:1], v[254:255], v[8:9]
	s_delay_alu instid0(VALU_DEP_2) | instskip(NEXT) | instid1(VALU_DEP_2)
	v_add_f64 v[68:69], v[4:5], -v[68:69]
	v_fma_f64 v[70:71], v[252:253], v[10:11], -v[0:1]
	ds_load_b128 v[0:3], v170
	ds_load_b128 v[8:11], v170 offset:1584
	ds_load_b128 v[20:23], v170 offset:3168
	;; [unrolled: 1-line block ×7, first 2 shown]
	s_waitcnt lgkmcnt(7)
	v_add_f64 v[12:13], v[0:1], -v[12:13]
	v_add_f64 v[14:15], v[2:3], -v[14:15]
	s_waitcnt lgkmcnt(6)
	v_add_f64 v[16:17], v[8:9], -v[16:17]
	v_add_f64 v[18:19], v[10:11], -v[18:19]
	;; [unrolled: 3-line block ×8, first 2 shown]
	v_fma_f64 v[4:5], v[4:5], 2.0, -v[68:69]
	v_add_f64 v[70:71], v[6:7], -v[70:71]
	v_fma_f64 v[0:1], v[0:1], 2.0, -v[12:13]
	v_fma_f64 v[2:3], v[2:3], 2.0, -v[14:15]
	;; [unrolled: 1-line block ×17, first 2 shown]
	ds_store_b128 v170, v[16:19] offset:15840
	ds_store_b128 v170, v[28:31] offset:17424
	;; [unrolled: 1-line block ×8, first 2 shown]
	ds_store_b128 v170, v[0:3]
	ds_store_b128 v170, v[8:11] offset:1584
	ds_store_b128 v170, v[20:23] offset:3168
	;; [unrolled: 1-line block ×9, first 2 shown]
	s_waitcnt lgkmcnt(0)
	s_barrier
	buffer_gl0_inv
	ds_load_b128 v[0:3], v170
	ds_load_b128 v[4:7], v170 offset:2592
	s_clause 0x9
	scratch_load_b128 v[20:23], off, off offset:124
	scratch_load_b128 v[24:27], off, off offset:140
	;; [unrolled: 1-line block ×10, first 2 shown]
	ds_load_b128 v[8:11], v170 offset:5184
	scratch_load_b32 v59, off, off offset:120 ; 4-byte Folded Reload
	s_waitcnt vmcnt(10) lgkmcnt(2)
	v_mul_f64 v[12:13], v[22:23], v[2:3]
	v_mul_f64 v[14:15], v[22:23], v[0:1]
	s_waitcnt vmcnt(9) lgkmcnt(1)
	v_mul_f64 v[16:17], v[26:27], v[6:7]
	v_mul_f64 v[18:19], v[26:27], v[4:5]
	s_delay_alu instid0(VALU_DEP_4) | instskip(NEXT) | instid1(VALU_DEP_4)
	v_fma_f64 v[12:13], v[20:21], v[0:1], v[12:13]
	v_fma_f64 v[14:15], v[20:21], v[2:3], -v[14:15]
	ds_load_b128 v[0:3], v170 offset:7776
	s_waitcnt vmcnt(8) lgkmcnt(1)
	v_mul_f64 v[20:21], v[30:31], v[10:11]
	v_mul_f64 v[22:23], v[30:31], v[8:9]
	v_fma_f64 v[16:17], v[24:25], v[4:5], v[16:17]
	v_fma_f64 v[18:19], v[24:25], v[6:7], -v[18:19]
	ds_load_b128 v[4:7], v170 offset:10368
	s_waitcnt vmcnt(6) lgkmcnt(1)
	v_mul_f64 v[24:25], v[34:35], v[2:3]
	v_mul_f64 v[26:27], v[34:35], v[0:1]
	v_fma_f64 v[20:21], v[28:29], v[8:9], v[20:21]
	v_fma_f64 v[22:23], v[28:29], v[10:11], -v[22:23]
	ds_load_b128 v[8:11], v170 offset:12960
	s_waitcnt lgkmcnt(1)
	v_mul_f64 v[28:29], v[38:39], v[6:7]
	v_mul_f64 v[30:31], v[38:39], v[4:5]
	v_fma_f64 v[24:25], v[32:33], v[0:1], v[24:25]
	v_fma_f64 v[26:27], v[32:33], v[2:3], -v[26:27]
	ds_load_b128 v[0:3], v170 offset:15552
	s_waitcnt vmcnt(5) lgkmcnt(1)
	v_mul_f64 v[32:33], v[42:43], v[10:11]
	v_mul_f64 v[34:35], v[42:43], v[8:9]
	v_fma_f64 v[28:29], v[36:37], v[4:5], v[28:29]
	v_fma_f64 v[30:31], v[36:37], v[6:7], -v[30:31]
	ds_load_b128 v[4:7], v170 offset:18144
	s_waitcnt vmcnt(4) lgkmcnt(1)
	;; [unrolled: 6-line block ×3, first 2 shown]
	v_mul_f64 v[40:41], v[50:51], v[6:7]
	v_mul_f64 v[42:43], v[50:51], v[4:5]
	v_fma_f64 v[36:37], v[44:45], v[0:1], v[36:37]
	v_fma_f64 v[38:39], v[44:45], v[2:3], -v[38:39]
	ds_load_b128 v[0:3], v170 offset:23328
	s_waitcnt lgkmcnt(1)
	v_mul_f64 v[44:45], v[55:56], v[10:11]
	v_mul_f64 v[46:47], v[55:56], v[8:9]
	v_fma_f64 v[40:41], v[48:49], v[4:5], v[40:41]
	v_fma_f64 v[42:43], v[48:49], v[6:7], -v[42:43]
	scratch_load_b64 v[48:49], off, off offset:112 ; 8-byte Folded Reload
	ds_load_b128 v[4:7], v170 offset:25920
	v_fma_f64 v[44:45], v[53:54], v[8:9], v[44:45]
	v_fma_f64 v[46:47], v[53:54], v[10:11], -v[46:47]
	s_waitcnt vmcnt(2) lgkmcnt(1)
	v_mul_f64 v[8:9], v[62:63], v[2:3]
	v_mul_f64 v[10:11], v[62:63], v[0:1]
	scratch_load_b128 v[62:65], off, off offset:172 ; 16-byte Folded Reload
	v_fma_f64 v[0:1], v[60:61], v[0:1], v[8:9]
	s_waitcnt vmcnt(1)
	v_mov_b32_e32 v52, v48
	s_delay_alu instid0(VALU_DEP_1) | instskip(NEXT) | instid1(VALU_DEP_1)
	v_mad_u64_u32 v[48:49], null, s6, v52, 0
	v_mad_u64_u32 v[50:51], null, s7, v52, v[49:50]
	;; [unrolled: 1-line block ×3, first 2 shown]
	s_mov_b32 s6, 0x7210aa18
	s_mov_b32 s7, 0x3f426369
	s_delay_alu instid0(SALU_CYCLE_1) | instskip(NEXT) | instid1(VALU_DEP_3)
	v_mul_f64 v[8:9], v[18:19], s[6:7]
	v_mov_b32_e32 v49, v50
	v_mul_f64 v[18:19], v[28:29], s[6:7]
	s_delay_alu instid0(VALU_DEP_4)
	v_mov_b32_e32 v50, v52
	s_waitcnt vmcnt(0) lgkmcnt(0)
	v_mul_f64 v[53:54], v[64:65], v[6:7]
	v_mul_f64 v[55:56], v[64:65], v[4:5]
	v_lshlrev_b64 v[48:49], 4, v[48:49]
	v_mul_f64 v[28:29], v[38:39], s[6:7]
	v_mad_u64_u32 v[57:58], null, s5, v59, v[50:51]
	v_mul_f64 v[38:39], v[0:1], s[6:7]
	s_delay_alu instid0(VALU_DEP_4) | instskip(NEXT) | instid1(VALU_DEP_1)
	v_add_co_u32 v48, s0, s10, v48
	v_add_co_ci_u32_e64 v49, s0, s11, v49, s0
	s_delay_alu instid0(VALU_DEP_4)
	v_mov_b32_e32 v52, v57
	v_fma_f64 v[57:58], v[60:61], v[2:3], -v[10:11]
	v_mul_f64 v[2:3], v[12:13], s[6:7]
	v_mul_f64 v[10:11], v[20:21], s[6:7]
	;; [unrolled: 1-line block ×3, first 2 shown]
	v_lshlrev_b64 v[50:51], 4, v[51:52]
	v_mul_f64 v[20:21], v[30:31], s[6:7]
	v_mul_f64 v[22:23], v[32:33], s[6:7]
	;; [unrolled: 1-line block ×4, first 2 shown]
	v_add_co_u32 v48, s0, v48, v50
	s_delay_alu instid0(VALU_DEP_1) | instskip(NEXT) | instid1(VALU_DEP_2)
	v_add_co_ci_u32_e64 v49, s0, v49, v51, s0
	v_add_co_u32 v50, s0, v48, s2
	s_delay_alu instid0(VALU_DEP_1) | instskip(NEXT) | instid1(VALU_DEP_2)
	v_add_co_ci_u32_e64 v51, s0, s3, v49, s0
	v_add_co_u32 v59, s0, v50, s2
	s_delay_alu instid0(VALU_DEP_1) | instskip(SKIP_2) | instid1(VALU_DEP_4)
	v_add_co_ci_u32_e64 v60, s0, s3, v51, s0
	v_fma_f64 v[52:53], v[62:63], v[4:5], v[53:54]
	v_fma_f64 v[54:55], v[62:63], v[6:7], -v[55:56]
	v_add_co_u32 v61, s0, v59, s2
	s_delay_alu instid0(VALU_DEP_1) | instskip(SKIP_1) | instid1(VALU_DEP_3)
	v_add_co_ci_u32_e64 v62, s0, s3, v60, s0
	v_mul_f64 v[4:5], v[14:15], s[6:7]
	v_add_co_u32 v63, s0, v61, s2
	v_mul_f64 v[6:7], v[16:17], s[6:7]
	s_delay_alu instid0(VALU_DEP_4)
	v_add_co_ci_u32_e64 v64, s0, s3, v62, s0
	v_mul_f64 v[14:15], v[24:25], s[6:7]
	v_mul_f64 v[16:17], v[26:27], s[6:7]
	v_mul_f64 v[24:25], v[34:35], s[6:7]
	v_mul_f64 v[26:27], v[36:37], s[6:7]
	v_mul_f64 v[36:37], v[46:47], s[6:7]
	v_add_co_u32 v46, s0, v63, s2
	v_mul_f64 v[34:35], v[44:45], s[6:7]
	v_add_co_ci_u32_e64 v47, s0, s3, v64, s0
	v_mul_f64 v[40:41], v[57:58], s[6:7]
	v_mul_f64 v[42:43], v[52:53], s[6:7]
	;; [unrolled: 1-line block ×3, first 2 shown]
	v_add_co_u32 v52, s0, v46, s2
	s_delay_alu instid0(VALU_DEP_1) | instskip(NEXT) | instid1(VALU_DEP_2)
	v_add_co_ci_u32_e64 v53, s0, s3, v47, s0
	v_add_co_u32 v54, s0, v52, s2
	s_delay_alu instid0(VALU_DEP_1) | instskip(NEXT) | instid1(VALU_DEP_2)
	v_add_co_ci_u32_e64 v55, s0, s3, v53, s0
	v_add_co_u32 v56, s0, v54, s2
	s_delay_alu instid0(VALU_DEP_1) | instskip(NEXT) | instid1(VALU_DEP_2)
	v_add_co_ci_u32_e64 v57, s0, s3, v55, s0
	v_add_co_u32 v65, s0, v56, s2
	s_delay_alu instid0(VALU_DEP_1) | instskip(NEXT) | instid1(VALU_DEP_2)
	v_add_co_ci_u32_e64 v66, s0, s3, v57, s0
	v_add_co_u32 v0, s0, v65, s2
	s_delay_alu instid0(VALU_DEP_1)
	v_add_co_ci_u32_e64 v1, s0, s3, v66, s0
	s_clause 0x4
	global_store_b128 v[48:49], v[2:5], off
	global_store_b128 v[50:51], v[6:9], off
	;; [unrolled: 1-line block ×11, first 2 shown]
	s_and_b32 exec_lo, exec_lo, vcc_lo
	s_cbranch_execz .LBB0_15
; %bb.14:
	global_load_b128 v[2:5], v[88:89], off offset:1584
	ds_load_b128 v[6:9], v170 offset:1584
	ds_load_b128 v[10:13], v170 offset:4176
	s_mul_i32 s0, s5, 0xffffa0f0
	s_delay_alu instid0(SALU_CYCLE_1) | instskip(SKIP_3) | instid1(VALU_DEP_2)
	s_sub_i32 s0, s0, s4
	s_waitcnt vmcnt(0) lgkmcnt(1)
	v_mul_f64 v[14:15], v[8:9], v[4:5]
	v_mul_f64 v[4:5], v[6:7], v[4:5]
	v_fma_f64 v[6:7], v[6:7], v[2:3], v[14:15]
	s_delay_alu instid0(VALU_DEP_2) | instskip(SKIP_4) | instid1(VALU_DEP_1)
	v_fma_f64 v[4:5], v[2:3], v[8:9], -v[4:5]
	scratch_load_b64 v[8:9], off, off offset:104 ; 8-byte Folded Reload
	v_mul_f64 v[2:3], v[6:7], s[6:7]
	v_mul_f64 v[4:5], v[4:5], s[6:7]
	v_mad_u64_u32 v[6:7], null, 0xffffa0f0, s4, v[0:1]
	v_add_nc_u32_e32 v7, s0, v7
	global_store_b128 v[6:7], v[2:5], off
	s_waitcnt vmcnt(0)
	global_load_b128 v[0:3], v[8:9], off offset:80
	s_waitcnt vmcnt(0) lgkmcnt(0)
	v_mul_f64 v[4:5], v[12:13], v[2:3]
	v_mul_f64 v[2:3], v[10:11], v[2:3]
	s_delay_alu instid0(VALU_DEP_2) | instskip(NEXT) | instid1(VALU_DEP_2)
	v_fma_f64 v[4:5], v[10:11], v[0:1], v[4:5]
	v_fma_f64 v[2:3], v[0:1], v[12:13], -v[2:3]
	v_add_co_u32 v12, vcc_lo, v6, s2
	v_add_co_ci_u32_e32 v13, vcc_lo, s3, v7, vcc_lo
	s_delay_alu instid0(VALU_DEP_4) | instskip(NEXT) | instid1(VALU_DEP_4)
	v_mul_f64 v[0:1], v[4:5], s[6:7]
	v_mul_f64 v[2:3], v[2:3], s[6:7]
	global_store_b128 v[12:13], v[0:3], off
	global_load_b128 v[0:3], v[8:9], off offset:2672
	ds_load_b128 v[4:7], v170 offset:6768
	ds_load_b128 v[8:11], v170 offset:9360
	s_waitcnt vmcnt(0) lgkmcnt(1)
	v_mul_f64 v[14:15], v[6:7], v[2:3]
	v_mul_f64 v[2:3], v[4:5], v[2:3]
	s_delay_alu instid0(VALU_DEP_2) | instskip(SKIP_4) | instid1(VALU_DEP_3)
	v_fma_f64 v[4:5], v[4:5], v[0:1], v[14:15]
	scratch_load_b64 v[14:15], off, off offset:96 ; 8-byte Folded Reload
	v_fma_f64 v[2:3], v[0:1], v[6:7], -v[2:3]
	v_mul_f64 v[0:1], v[4:5], s[6:7]
	v_add_co_u32 v4, vcc_lo, v12, s2
	v_mul_f64 v[2:3], v[2:3], s[6:7]
	v_add_co_ci_u32_e32 v5, vcc_lo, s3, v13, vcc_lo
	s_delay_alu instid0(VALU_DEP_3) | instskip(NEXT) | instid1(VALU_DEP_2)
	v_add_co_u32 v12, vcc_lo, v4, s2
	v_add_co_ci_u32_e32 v13, vcc_lo, s3, v5, vcc_lo
	global_store_b128 v[4:5], v[0:3], off
	s_waitcnt vmcnt(0)
	global_load_b128 v[0:3], v[14:15], off offset:1168
	s_waitcnt vmcnt(0) lgkmcnt(0)
	v_mul_f64 v[6:7], v[10:11], v[2:3]
	v_mul_f64 v[2:3], v[8:9], v[2:3]
	s_delay_alu instid0(VALU_DEP_2) | instskip(NEXT) | instid1(VALU_DEP_2)
	v_fma_f64 v[6:7], v[8:9], v[0:1], v[6:7]
	v_fma_f64 v[2:3], v[0:1], v[10:11], -v[2:3]
	s_delay_alu instid0(VALU_DEP_2) | instskip(NEXT) | instid1(VALU_DEP_2)
	v_mul_f64 v[0:1], v[6:7], s[6:7]
	v_mul_f64 v[2:3], v[2:3], s[6:7]
	global_store_b128 v[12:13], v[0:3], off
	global_load_b128 v[0:3], v[14:15], off offset:3760
	ds_load_b128 v[4:7], v170 offset:11952
	ds_load_b128 v[8:11], v170 offset:14544
	scratch_load_b64 v[16:17], off, off offset:80 ; 8-byte Folded Reload
	s_waitcnt vmcnt(1) lgkmcnt(1)
	v_mul_f64 v[14:15], v[6:7], v[2:3]
	v_mul_f64 v[2:3], v[4:5], v[2:3]
	s_delay_alu instid0(VALU_DEP_2) | instskip(NEXT) | instid1(VALU_DEP_2)
	v_fma_f64 v[4:5], v[4:5], v[0:1], v[14:15]
	v_fma_f64 v[2:3], v[0:1], v[6:7], -v[2:3]
	s_delay_alu instid0(VALU_DEP_2) | instskip(NEXT) | instid1(VALU_DEP_2)
	v_mul_f64 v[0:1], v[4:5], s[6:7]
	v_mul_f64 v[2:3], v[2:3], s[6:7]
	v_add_co_u32 v4, vcc_lo, v12, s2
	v_add_co_ci_u32_e32 v5, vcc_lo, s3, v13, vcc_lo
	s_delay_alu instid0(VALU_DEP_2) | instskip(NEXT) | instid1(VALU_DEP_2)
	v_add_co_u32 v12, vcc_lo, v4, s2
	v_add_co_ci_u32_e32 v13, vcc_lo, s3, v5, vcc_lo
	global_store_b128 v[4:5], v[0:3], off
	scratch_load_b64 v[0:1], off, off offset:88 ; 8-byte Folded Reload
	s_waitcnt vmcnt(0)
	global_load_b128 v[0:3], v[0:1], off offset:2256
	s_waitcnt vmcnt(0) lgkmcnt(0)
	v_mul_f64 v[6:7], v[10:11], v[2:3]
	v_mul_f64 v[2:3], v[8:9], v[2:3]
	s_delay_alu instid0(VALU_DEP_2) | instskip(NEXT) | instid1(VALU_DEP_2)
	v_fma_f64 v[6:7], v[8:9], v[0:1], v[6:7]
	v_fma_f64 v[2:3], v[0:1], v[10:11], -v[2:3]
	s_delay_alu instid0(VALU_DEP_2) | instskip(NEXT) | instid1(VALU_DEP_2)
	v_mul_f64 v[0:1], v[6:7], s[6:7]
	v_mul_f64 v[2:3], v[2:3], s[6:7]
	global_store_b128 v[12:13], v[0:3], off
	global_load_b128 v[0:3], v[16:17], off offset:752
	ds_load_b128 v[4:7], v170 offset:17136
	ds_load_b128 v[8:11], v170 offset:19728
	s_waitcnt vmcnt(0) lgkmcnt(1)
	v_mul_f64 v[14:15], v[6:7], v[2:3]
	v_mul_f64 v[2:3], v[4:5], v[2:3]
	s_delay_alu instid0(VALU_DEP_2) | instskip(NEXT) | instid1(VALU_DEP_2)
	v_fma_f64 v[4:5], v[4:5], v[0:1], v[14:15]
	v_fma_f64 v[2:3], v[0:1], v[6:7], -v[2:3]
	s_delay_alu instid0(VALU_DEP_2) | instskip(NEXT) | instid1(VALU_DEP_2)
	v_mul_f64 v[0:1], v[4:5], s[6:7]
	v_mul_f64 v[2:3], v[2:3], s[6:7]
	v_add_co_u32 v4, vcc_lo, v12, s2
	v_add_co_ci_u32_e32 v5, vcc_lo, s3, v13, vcc_lo
	s_delay_alu instid0(VALU_DEP_2) | instskip(NEXT) | instid1(VALU_DEP_2)
	v_add_co_u32 v12, vcc_lo, v4, s2
	v_add_co_ci_u32_e32 v13, vcc_lo, s3, v5, vcc_lo
	global_store_b128 v[4:5], v[0:3], off
	global_load_b128 v[0:3], v[16:17], off offset:3344
	s_waitcnt vmcnt(0) lgkmcnt(0)
	v_mul_f64 v[6:7], v[10:11], v[2:3]
	v_mul_f64 v[2:3], v[8:9], v[2:3]
	s_delay_alu instid0(VALU_DEP_2) | instskip(NEXT) | instid1(VALU_DEP_2)
	v_fma_f64 v[6:7], v[8:9], v[0:1], v[6:7]
	v_fma_f64 v[2:3], v[0:1], v[10:11], -v[2:3]
	s_delay_alu instid0(VALU_DEP_2) | instskip(NEXT) | instid1(VALU_DEP_2)
	v_mul_f64 v[0:1], v[6:7], s[6:7]
	v_mul_f64 v[2:3], v[2:3], s[6:7]
	global_store_b128 v[12:13], v[0:3], off
	scratch_load_b64 v[0:1], off, off offset:72 ; 8-byte Folded Reload
	s_waitcnt vmcnt(0)
	global_load_b128 v[0:3], v[0:1], off offset:1840
	ds_load_b128 v[4:7], v170 offset:22320
	ds_load_b128 v[8:11], v170 offset:24912
	s_waitcnt vmcnt(0) lgkmcnt(1)
	v_mul_f64 v[14:15], v[6:7], v[2:3]
	v_mul_f64 v[2:3], v[4:5], v[2:3]
	s_delay_alu instid0(VALU_DEP_2) | instskip(NEXT) | instid1(VALU_DEP_2)
	v_fma_f64 v[4:5], v[4:5], v[0:1], v[14:15]
	v_fma_f64 v[2:3], v[0:1], v[6:7], -v[2:3]
	s_delay_alu instid0(VALU_DEP_2)
	v_mul_f64 v[0:1], v[4:5], s[6:7]
	v_add_co_u32 v4, vcc_lo, v12, s2
	v_add_co_ci_u32_e32 v5, vcc_lo, s3, v13, vcc_lo
	scratch_load_b64 v[12:13], off, off     ; 8-byte Folded Reload
	v_mul_f64 v[2:3], v[2:3], s[6:7]
	global_store_b128 v[4:5], v[0:3], off
	s_waitcnt vmcnt(0)
	global_load_b128 v[0:3], v[12:13], off offset:336
	s_waitcnt vmcnt(0) lgkmcnt(0)
	v_mul_f64 v[6:7], v[10:11], v[2:3]
	v_mul_f64 v[2:3], v[8:9], v[2:3]
	s_delay_alu instid0(VALU_DEP_2) | instskip(NEXT) | instid1(VALU_DEP_2)
	v_fma_f64 v[6:7], v[8:9], v[0:1], v[6:7]
	v_fma_f64 v[2:3], v[0:1], v[10:11], -v[2:3]
	v_add_co_u32 v8, vcc_lo, v4, s2
	v_add_co_ci_u32_e32 v9, vcc_lo, s3, v5, vcc_lo
	s_delay_alu instid0(VALU_DEP_4) | instskip(NEXT) | instid1(VALU_DEP_4)
	v_mul_f64 v[0:1], v[6:7], s[6:7]
	v_mul_f64 v[2:3], v[2:3], s[6:7]
	ds_load_b128 v[4:7], v170 offset:27504
	global_store_b128 v[8:9], v[0:3], off
	global_load_b128 v[0:3], v[12:13], off offset:2928
	s_waitcnt vmcnt(0) lgkmcnt(0)
	v_mul_f64 v[10:11], v[6:7], v[2:3]
	v_mul_f64 v[2:3], v[4:5], v[2:3]
	s_delay_alu instid0(VALU_DEP_2) | instskip(NEXT) | instid1(VALU_DEP_2)
	v_fma_f64 v[4:5], v[4:5], v[0:1], v[10:11]
	v_fma_f64 v[2:3], v[0:1], v[6:7], -v[2:3]
	s_delay_alu instid0(VALU_DEP_2) | instskip(NEXT) | instid1(VALU_DEP_2)
	v_mul_f64 v[0:1], v[4:5], s[6:7]
	v_mul_f64 v[2:3], v[2:3], s[6:7]
	v_add_co_u32 v4, vcc_lo, v8, s2
	v_add_co_ci_u32_e32 v5, vcc_lo, s3, v9, vcc_lo
	global_store_b128 v[4:5], v[0:3], off
.LBB0_15:
	s_nop 0
	s_sendmsg sendmsg(MSG_DEALLOC_VGPRS)
	s_endpgm
	.section	.rodata,"a",@progbits
	.p2align	6, 0x0
	.amdhsa_kernel bluestein_single_fwd_len1782_dim1_dp_op_CI_CI
		.amdhsa_group_segment_fixed_size 28512
		.amdhsa_private_segment_fixed_size 804
		.amdhsa_kernarg_size 104
		.amdhsa_user_sgpr_count 15
		.amdhsa_user_sgpr_dispatch_ptr 0
		.amdhsa_user_sgpr_queue_ptr 0
		.amdhsa_user_sgpr_kernarg_segment_ptr 1
		.amdhsa_user_sgpr_dispatch_id 0
		.amdhsa_user_sgpr_private_segment_size 0
		.amdhsa_wavefront_size32 1
		.amdhsa_uses_dynamic_stack 0
		.amdhsa_enable_private_segment 1
		.amdhsa_system_sgpr_workgroup_id_x 1
		.amdhsa_system_sgpr_workgroup_id_y 0
		.amdhsa_system_sgpr_workgroup_id_z 0
		.amdhsa_system_sgpr_workgroup_info 0
		.amdhsa_system_vgpr_workitem_id 0
		.amdhsa_next_free_vgpr 256
		.amdhsa_next_free_sgpr 38
		.amdhsa_reserve_vcc 1
		.amdhsa_float_round_mode_32 0
		.amdhsa_float_round_mode_16_64 0
		.amdhsa_float_denorm_mode_32 3
		.amdhsa_float_denorm_mode_16_64 3
		.amdhsa_dx10_clamp 1
		.amdhsa_ieee_mode 1
		.amdhsa_fp16_overflow 0
		.amdhsa_workgroup_processor_mode 1
		.amdhsa_memory_ordered 1
		.amdhsa_forward_progress 0
		.amdhsa_shared_vgpr_count 0
		.amdhsa_exception_fp_ieee_invalid_op 0
		.amdhsa_exception_fp_denorm_src 0
		.amdhsa_exception_fp_ieee_div_zero 0
		.amdhsa_exception_fp_ieee_overflow 0
		.amdhsa_exception_fp_ieee_underflow 0
		.amdhsa_exception_fp_ieee_inexact 0
		.amdhsa_exception_int_div_zero 0
	.end_amdhsa_kernel
	.text
.Lfunc_end0:
	.size	bluestein_single_fwd_len1782_dim1_dp_op_CI_CI, .Lfunc_end0-bluestein_single_fwd_len1782_dim1_dp_op_CI_CI
                                        ; -- End function
	.section	.AMDGPU.csdata,"",@progbits
; Kernel info:
; codeLenInByte = 35808
; NumSgprs: 40
; NumVgprs: 256
; ScratchSize: 804
; MemoryBound: 0
; FloatMode: 240
; IeeeMode: 1
; LDSByteSize: 28512 bytes/workgroup (compile time only)
; SGPRBlocks: 4
; VGPRBlocks: 31
; NumSGPRsForWavesPerEU: 40
; NumVGPRsForWavesPerEU: 256
; Occupancy: 4
; WaveLimiterHint : 1
; COMPUTE_PGM_RSRC2:SCRATCH_EN: 1
; COMPUTE_PGM_RSRC2:USER_SGPR: 15
; COMPUTE_PGM_RSRC2:TRAP_HANDLER: 0
; COMPUTE_PGM_RSRC2:TGID_X_EN: 1
; COMPUTE_PGM_RSRC2:TGID_Y_EN: 0
; COMPUTE_PGM_RSRC2:TGID_Z_EN: 0
; COMPUTE_PGM_RSRC2:TIDIG_COMP_CNT: 0
	.text
	.p2alignl 7, 3214868480
	.fill 96, 4, 3214868480
	.type	__hip_cuid_3514e15c90e3a20f,@object ; @__hip_cuid_3514e15c90e3a20f
	.section	.bss,"aw",@nobits
	.globl	__hip_cuid_3514e15c90e3a20f
__hip_cuid_3514e15c90e3a20f:
	.byte	0                               ; 0x0
	.size	__hip_cuid_3514e15c90e3a20f, 1

	.ident	"AMD clang version 19.0.0git (https://github.com/RadeonOpenCompute/llvm-project roc-6.4.0 25133 c7fe45cf4b819c5991fe208aaa96edf142730f1d)"
	.section	".note.GNU-stack","",@progbits
	.addrsig
	.addrsig_sym __hip_cuid_3514e15c90e3a20f
	.amdgpu_metadata
---
amdhsa.kernels:
  - .args:
      - .actual_access:  read_only
        .address_space:  global
        .offset:         0
        .size:           8
        .value_kind:     global_buffer
      - .actual_access:  read_only
        .address_space:  global
        .offset:         8
        .size:           8
        .value_kind:     global_buffer
      - .actual_access:  read_only
        .address_space:  global
        .offset:         16
        .size:           8
        .value_kind:     global_buffer
      - .actual_access:  read_only
        .address_space:  global
        .offset:         24
        .size:           8
        .value_kind:     global_buffer
      - .actual_access:  read_only
        .address_space:  global
        .offset:         32
        .size:           8
        .value_kind:     global_buffer
      - .offset:         40
        .size:           8
        .value_kind:     by_value
      - .address_space:  global
        .offset:         48
        .size:           8
        .value_kind:     global_buffer
      - .address_space:  global
        .offset:         56
        .size:           8
        .value_kind:     global_buffer
      - .address_space:  global
        .offset:         64
        .size:           8
        .value_kind:     global_buffer
      - .address_space:  global
        .offset:         72
        .size:           8
        .value_kind:     global_buffer
      - .offset:         80
        .size:           4
        .value_kind:     by_value
      - .address_space:  global
        .offset:         88
        .size:           8
        .value_kind:     global_buffer
      - .address_space:  global
        .offset:         96
        .size:           8
        .value_kind:     global_buffer
    .group_segment_fixed_size: 28512
    .kernarg_segment_align: 8
    .kernarg_segment_size: 104
    .language:       OpenCL C
    .language_version:
      - 2
      - 0
    .max_flat_workgroup_size: 99
    .name:           bluestein_single_fwd_len1782_dim1_dp_op_CI_CI
    .private_segment_fixed_size: 804
    .sgpr_count:     40
    .sgpr_spill_count: 0
    .symbol:         bluestein_single_fwd_len1782_dim1_dp_op_CI_CI.kd
    .uniform_work_group_size: 1
    .uses_dynamic_stack: false
    .vgpr_count:     256
    .vgpr_spill_count: 216
    .wavefront_size: 32
    .workgroup_processor_mode: 1
amdhsa.target:   amdgcn-amd-amdhsa--gfx1100
amdhsa.version:
  - 1
  - 2
...

	.end_amdgpu_metadata
